;; amdgpu-corpus repo=ROCm/rocFFT kind=compiled arch=gfx906 opt=O3
	.text
	.amdgcn_target "amdgcn-amd-amdhsa--gfx906"
	.amdhsa_code_object_version 6
	.protected	fft_rtc_back_len884_factors_13_4_17_wgs_204_tpt_68_halfLds_half_op_CI_CI_unitstride_sbrr_R2C_dirReg ; -- Begin function fft_rtc_back_len884_factors_13_4_17_wgs_204_tpt_68_halfLds_half_op_CI_CI_unitstride_sbrr_R2C_dirReg
	.globl	fft_rtc_back_len884_factors_13_4_17_wgs_204_tpt_68_halfLds_half_op_CI_CI_unitstride_sbrr_R2C_dirReg
	.p2align	8
	.type	fft_rtc_back_len884_factors_13_4_17_wgs_204_tpt_68_halfLds_half_op_CI_CI_unitstride_sbrr_R2C_dirReg,@function
fft_rtc_back_len884_factors_13_4_17_wgs_204_tpt_68_halfLds_half_op_CI_CI_unitstride_sbrr_R2C_dirReg: ; @fft_rtc_back_len884_factors_13_4_17_wgs_204_tpt_68_halfLds_half_op_CI_CI_unitstride_sbrr_R2C_dirReg
; %bb.0:
	v_mul_u32_u24_e32 v1, 0x3c4, v0
	s_load_dwordx4 s[8:11], s[4:5], 0x58
	s_load_dwordx4 s[12:15], s[4:5], 0x0
	;; [unrolled: 1-line block ×3, first 2 shown]
	v_lshrrev_b32_e32 v1, 16, v1
	v_mad_u64_u32 v[5:6], s[0:1], s6, 3, v[1:2]
	v_mov_b32_e32 v7, 0
	s_waitcnt lgkmcnt(0)
	v_cmp_lt_u64_e64 s[0:1], s[14:15], 2
	v_mov_b32_e32 v11, 0
	v_mov_b32_e32 v6, v7
	;; [unrolled: 1-line block ×5, first 2 shown]
	s_and_b64 vcc, exec, s[0:1]
	v_mov_b32_e32 v2, v12
	v_mov_b32_e32 v4, v6
	s_cbranch_vccnz .LBB0_8
; %bb.1:
	s_load_dwordx2 s[0:1], s[4:5], 0x10
	s_add_u32 s2, s18, 8
	s_addc_u32 s3, s19, 0
	s_add_u32 s6, s16, 8
	s_addc_u32 s7, s17, 0
	v_mov_b32_e32 v11, 0
	s_waitcnt lgkmcnt(0)
	s_add_u32 s20, s0, 8
	v_mov_b32_e32 v12, 0
	v_mov_b32_e32 v1, v11
	;; [unrolled: 1-line block ×3, first 2 shown]
	s_addc_u32 s21, s1, 0
	s_mov_b64 s[22:23], 1
	v_mov_b32_e32 v2, v12
	v_mov_b32_e32 v9, v5
.LBB0_2:                                ; =>This Inner Loop Header: Depth=1
	s_load_dwordx2 s[24:25], s[20:21], 0x0
                                        ; implicit-def: $vgpr3_vgpr4
	s_waitcnt lgkmcnt(0)
	v_or_b32_e32 v8, s25, v10
	v_cmp_ne_u64_e32 vcc, 0, v[7:8]
	s_and_saveexec_b64 s[0:1], vcc
	s_xor_b64 s[26:27], exec, s[0:1]
	s_cbranch_execz .LBB0_4
; %bb.3:                                ;   in Loop: Header=BB0_2 Depth=1
	v_cvt_f32_u32_e32 v3, s24
	v_cvt_f32_u32_e32 v4, s25
	s_sub_u32 s0, 0, s24
	s_subb_u32 s1, 0, s25
	v_mac_f32_e32 v3, 0x4f800000, v4
	v_rcp_f32_e32 v3, v3
	v_mul_f32_e32 v3, 0x5f7ffffc, v3
	v_mul_f32_e32 v4, 0x2f800000, v3
	v_trunc_f32_e32 v4, v4
	v_mac_f32_e32 v3, 0xcf800000, v4
	v_cvt_u32_f32_e32 v4, v4
	v_cvt_u32_f32_e32 v3, v3
	v_mul_lo_u32 v6, s0, v4
	v_mul_hi_u32 v8, s0, v3
	v_mul_lo_u32 v14, s1, v3
	v_mul_lo_u32 v13, s0, v3
	v_add_u32_e32 v6, v8, v6
	v_add_u32_e32 v6, v6, v14
	v_mul_hi_u32 v8, v3, v13
	v_mul_lo_u32 v14, v3, v6
	v_mul_hi_u32 v16, v3, v6
	v_mul_hi_u32 v15, v4, v13
	v_mul_lo_u32 v13, v4, v13
	v_mul_hi_u32 v17, v4, v6
	v_add_co_u32_e32 v8, vcc, v8, v14
	v_addc_co_u32_e32 v14, vcc, 0, v16, vcc
	v_mul_lo_u32 v6, v4, v6
	v_add_co_u32_e32 v8, vcc, v8, v13
	v_addc_co_u32_e32 v8, vcc, v14, v15, vcc
	v_addc_co_u32_e32 v13, vcc, 0, v17, vcc
	v_add_co_u32_e32 v6, vcc, v8, v6
	v_addc_co_u32_e32 v8, vcc, 0, v13, vcc
	v_add_co_u32_e32 v3, vcc, v3, v6
	v_addc_co_u32_e32 v4, vcc, v4, v8, vcc
	v_mul_lo_u32 v6, s0, v4
	v_mul_hi_u32 v8, s0, v3
	v_mul_lo_u32 v13, s1, v3
	v_mul_lo_u32 v14, s0, v3
	v_add_u32_e32 v6, v8, v6
	v_add_u32_e32 v6, v6, v13
	v_mul_lo_u32 v15, v3, v6
	v_mul_hi_u32 v16, v3, v14
	v_mul_hi_u32 v17, v3, v6
	;; [unrolled: 1-line block ×3, first 2 shown]
	v_mul_lo_u32 v14, v4, v14
	v_mul_hi_u32 v8, v4, v6
	v_add_co_u32_e32 v15, vcc, v16, v15
	v_addc_co_u32_e32 v16, vcc, 0, v17, vcc
	v_mul_lo_u32 v6, v4, v6
	v_add_co_u32_e32 v14, vcc, v15, v14
	v_addc_co_u32_e32 v13, vcc, v16, v13, vcc
	v_addc_co_u32_e32 v8, vcc, 0, v8, vcc
	v_add_co_u32_e32 v6, vcc, v13, v6
	v_addc_co_u32_e32 v8, vcc, 0, v8, vcc
	v_add_co_u32_e32 v6, vcc, v3, v6
	v_addc_co_u32_e32 v8, vcc, v4, v8, vcc
	v_mad_u64_u32 v[3:4], s[0:1], v9, v8, 0
	v_mul_hi_u32 v13, v9, v6
	v_add_co_u32_e32 v15, vcc, v13, v3
	v_addc_co_u32_e32 v16, vcc, 0, v4, vcc
	v_mad_u64_u32 v[3:4], s[0:1], v10, v6, 0
	v_mad_u64_u32 v[13:14], s[0:1], v10, v8, 0
	v_add_co_u32_e32 v3, vcc, v15, v3
	v_addc_co_u32_e32 v3, vcc, v16, v4, vcc
	v_addc_co_u32_e32 v4, vcc, 0, v14, vcc
	v_add_co_u32_e32 v6, vcc, v3, v13
	v_addc_co_u32_e32 v8, vcc, 0, v4, vcc
	v_mul_lo_u32 v13, s25, v6
	v_mul_lo_u32 v14, s24, v8
	v_mad_u64_u32 v[3:4], s[0:1], s24, v6, 0
	v_add3_u32 v4, v4, v14, v13
	v_sub_u32_e32 v13, v10, v4
	v_mov_b32_e32 v14, s25
	v_sub_co_u32_e32 v3, vcc, v9, v3
	v_subb_co_u32_e64 v13, s[0:1], v13, v14, vcc
	v_subrev_co_u32_e64 v14, s[0:1], s24, v3
	v_subbrev_co_u32_e64 v13, s[0:1], 0, v13, s[0:1]
	v_cmp_le_u32_e64 s[0:1], s25, v13
	v_cndmask_b32_e64 v15, 0, -1, s[0:1]
	v_cmp_le_u32_e64 s[0:1], s24, v14
	v_cndmask_b32_e64 v14, 0, -1, s[0:1]
	v_cmp_eq_u32_e64 s[0:1], s25, v13
	v_cndmask_b32_e64 v13, v15, v14, s[0:1]
	v_add_co_u32_e64 v14, s[0:1], 2, v6
	v_addc_co_u32_e64 v15, s[0:1], 0, v8, s[0:1]
	v_add_co_u32_e64 v16, s[0:1], 1, v6
	v_addc_co_u32_e64 v17, s[0:1], 0, v8, s[0:1]
	v_subb_co_u32_e32 v4, vcc, v10, v4, vcc
	v_cmp_ne_u32_e64 s[0:1], 0, v13
	v_cmp_le_u32_e32 vcc, s25, v4
	v_cndmask_b32_e64 v13, v17, v15, s[0:1]
	v_cndmask_b32_e64 v15, 0, -1, vcc
	v_cmp_le_u32_e32 vcc, s24, v3
	v_cndmask_b32_e64 v3, 0, -1, vcc
	v_cmp_eq_u32_e32 vcc, s25, v4
	v_cndmask_b32_e32 v3, v15, v3, vcc
	v_cmp_ne_u32_e32 vcc, 0, v3
	v_cndmask_b32_e64 v3, v16, v14, s[0:1]
	v_cndmask_b32_e32 v4, v8, v13, vcc
	v_cndmask_b32_e32 v3, v6, v3, vcc
.LBB0_4:                                ;   in Loop: Header=BB0_2 Depth=1
	s_andn2_saveexec_b64 s[0:1], s[26:27]
	s_cbranch_execz .LBB0_6
; %bb.5:                                ;   in Loop: Header=BB0_2 Depth=1
	v_cvt_f32_u32_e32 v3, s24
	s_sub_i32 s26, 0, s24
	v_rcp_iflag_f32_e32 v3, v3
	v_mul_f32_e32 v3, 0x4f7ffffe, v3
	v_cvt_u32_f32_e32 v3, v3
	v_mul_lo_u32 v4, s26, v3
	v_mul_hi_u32 v4, v3, v4
	v_add_u32_e32 v3, v3, v4
	v_mul_hi_u32 v3, v9, v3
	v_mul_lo_u32 v4, v3, s24
	v_add_u32_e32 v6, 1, v3
	v_sub_u32_e32 v4, v9, v4
	v_subrev_u32_e32 v8, s24, v4
	v_cmp_le_u32_e32 vcc, s24, v4
	v_cndmask_b32_e32 v4, v4, v8, vcc
	v_cndmask_b32_e32 v3, v3, v6, vcc
	v_add_u32_e32 v6, 1, v3
	v_cmp_le_u32_e32 vcc, s24, v4
	v_cndmask_b32_e32 v3, v3, v6, vcc
	v_mov_b32_e32 v4, v7
.LBB0_6:                                ;   in Loop: Header=BB0_2 Depth=1
	s_or_b64 exec, exec, s[0:1]
	v_mul_lo_u32 v6, v4, s24
	v_mul_lo_u32 v8, v3, s25
	v_mad_u64_u32 v[13:14], s[0:1], v3, s24, 0
	s_load_dwordx2 s[0:1], s[6:7], 0x0
	s_load_dwordx2 s[24:25], s[2:3], 0x0
	v_add3_u32 v6, v14, v8, v6
	v_sub_co_u32_e32 v8, vcc, v9, v13
	v_subb_co_u32_e32 v6, vcc, v10, v6, vcc
	s_waitcnt lgkmcnt(0)
	v_mul_lo_u32 v9, s0, v6
	v_mul_lo_u32 v10, s1, v8
	v_mad_u64_u32 v[11:12], s[0:1], s0, v8, v[11:12]
	s_add_u32 s22, s22, 1
	s_addc_u32 s23, s23, 0
	s_add_u32 s2, s2, 8
	v_mul_lo_u32 v6, s24, v6
	v_mul_lo_u32 v13, s25, v8
	v_mad_u64_u32 v[1:2], s[0:1], s24, v8, v[1:2]
	v_add3_u32 v12, v10, v12, v9
	s_addc_u32 s3, s3, 0
	v_mov_b32_e32 v8, s14
	s_add_u32 s6, s6, 8
	v_mov_b32_e32 v9, s15
	s_addc_u32 s7, s7, 0
	v_cmp_ge_u64_e32 vcc, s[22:23], v[8:9]
	s_add_u32 s20, s20, 8
	v_add3_u32 v2, v13, v2, v6
	s_addc_u32 s21, s21, 0
	s_cbranch_vccnz .LBB0_8
; %bb.7:                                ;   in Loop: Header=BB0_2 Depth=1
	v_mov_b32_e32 v10, v4
	v_mov_b32_e32 v9, v3
	s_branch .LBB0_2
.LBB0_8:
	s_mov_b32 s2, 0xaaaaaaab
	s_load_dwordx2 s[0:1], s[4:5], 0x28
	v_mul_hi_u32 v6, v5, s2
	s_lshl_b64 s[6:7], s[14:15], 3
	s_add_u32 s2, s18, s6
	s_addc_u32 s3, s19, s7
	v_lshrrev_b32_e32 v6, 1, v6
	v_lshl_add_u32 v6, v6, 1, v6
	s_waitcnt lgkmcnt(0)
	v_cmp_gt_u64_e32 vcc, s[0:1], v[3:4]
	v_cmp_le_u64_e64 s[0:1], s[0:1], v[3:4]
	v_sub_u32_e32 v6, v5, v6
                                        ; implicit-def: $vgpr5
                                        ; implicit-def: $vgpr8
                                        ; implicit-def: $vgpr10
                                        ; implicit-def: $vgpr7
	s_and_saveexec_b64 s[4:5], s[0:1]
	s_xor_b64 s[0:1], exec, s[4:5]
; %bb.9:
	s_mov_b32 s4, 0x3c3c3c4
	v_mul_hi_u32 v5, v0, s4
                                        ; implicit-def: $vgpr11_vgpr12
	v_mul_u32_u24_e32 v5, 0x44, v5
	v_sub_u32_e32 v5, v0, v5
	v_add_u32_e32 v8, 0x44, v5
	v_add_u32_e32 v10, 0x88, v5
	;; [unrolled: 1-line block ×3, first 2 shown]
                                        ; implicit-def: $vgpr0
; %bb.10:
	s_or_saveexec_b64 s[4:5], s[0:1]
	v_mul_u32_u24_e32 v6, 0x375, v6
	v_lshlrev_b32_e32 v26, 2, v6
	s_xor_b64 exec, exec, s[4:5]
	s_cbranch_execz .LBB0_12
; %bb.11:
	s_add_u32 s0, s16, s6
	s_addc_u32 s1, s17, s7
	s_load_dwordx2 s[0:1], s[0:1], 0x0
	s_mov_b32 s6, 0x3c3c3c4
	v_mul_hi_u32 v5, v0, s6
	s_waitcnt lgkmcnt(0)
	v_mul_lo_u32 v8, s1, v3
	v_mul_lo_u32 v9, s0, v4
	v_mad_u64_u32 v[6:7], s[0:1], s0, v3, 0
	v_mul_u32_u24_e32 v5, 0x44, v5
	v_sub_u32_e32 v5, v0, v5
	v_add3_u32 v7, v7, v9, v8
	v_lshlrev_b64 v[6:7], 2, v[6:7]
	v_mov_b32_e32 v0, s9
	v_add_co_u32_e64 v8, s[0:1], s8, v6
	v_addc_co_u32_e64 v0, s[0:1], v0, v7, s[0:1]
	v_lshlrev_b64 v[6:7], 2, v[11:12]
	v_lshlrev_b32_e32 v9, 2, v5
	v_add_co_u32_e64 v6, s[0:1], v8, v6
	v_addc_co_u32_e64 v0, s[0:1], v0, v7, s[0:1]
	v_add_co_u32_e64 v6, s[0:1], v6, v9
	v_addc_co_u32_e64 v7, s[0:1], 0, v0, s[0:1]
	global_load_dword v0, v[6:7], off offset:1360
	global_load_dword v11, v[6:7], off offset:1632
	;; [unrolled: 1-line block ×3, first 2 shown]
	global_load_dword v13, v[6:7], off
	global_load_dword v14, v[6:7], off offset:272
	global_load_dword v15, v[6:7], off offset:544
	;; [unrolled: 1-line block ×9, first 2 shown]
	v_add_u32_e32 v8, 0x44, v5
	v_add_u32_e32 v10, 0x88, v5
	v_add_u32_e32 v7, 0xcc, v5
	v_add3_u32 v6, 0, v26, v9
	v_add_u32_e32 v9, 0x400, v6
	v_add_u32_e32 v23, 0x800, v6
	s_waitcnt vmcnt(8)
	ds_write2_b32 v6, v13, v14 offset1:68
	s_waitcnt vmcnt(6)
	ds_write2_b32 v9, v16, v0 offset0:16 offset1:84
	ds_write2_b32 v9, v11, v12 offset0:152 offset1:220
	s_waitcnt vmcnt(5)
	ds_write2_b32 v6, v15, v17 offset0:136 offset1:204
	s_waitcnt vmcnt(3)
	ds_write2_b32 v23, v18, v19 offset0:32 offset1:100
	s_waitcnt vmcnt(1)
	ds_write2_b32 v23, v20, v21 offset0:168 offset1:236
	s_waitcnt vmcnt(0)
	ds_write_b32 v6, v22 offset:3264
.LBB0_12:
	s_or_b64 exec, exec, s[4:5]
	v_lshlrev_b32_e32 v6, 2, v5
	v_add3_u32 v9, 0, v6, v26
	v_add_u32_e32 v0, 0, v26
	v_add_u32_e32 v17, 0x200, v9
	;; [unrolled: 1-line block ×5, first 2 shown]
	s_load_dwordx2 s[2:3], s[2:3], 0x0
	s_waitcnt lgkmcnt(0)
	s_barrier
	v_add_u32_e32 v27, v0, v6
	ds_read2_b32 v[31:32], v17 offset0:76 offset1:144
	ds_read2_b32 v[11:12], v16 offset0:84 offset1:152
	;; [unrolled: 1-line block ×3, first 2 shown]
	ds_read_b32 v20, v27
	ds_read2_b32 v[22:23], v9 offset0:68 offset1:136
	ds_read2_b32 v[24:25], v21 offset0:108 offset1:176
	s_mov_b32 s19, 0xba95
	s_movk_i32 s5, 0x388b
	s_movk_i32 s6, 0x3a95
	s_mov_b32 s23, 0xbbf1
	s_waitcnt lgkmcnt(0)
	v_pk_add_f16 v29, v22, v25 neg_lo:[0,1] neg_hi:[0,1]
	v_pk_add_f16 v30, v25, v22
	v_mul_f16_sdwa v28, v29, s19 dst_sel:DWORD dst_unused:UNUSED_PAD src0_sel:WORD_1 src1_sel:DWORD
	v_fma_f16 v33, v30, s5, v28
	v_add_f16_e32 v35, v20, v33
	v_mul_f16_sdwa v33, v30, s5 dst_sel:DWORD dst_unused:UNUSED_PAD src0_sel:WORD_1 src1_sel:DWORD
	v_fma_f16 v34, v29, s6, v33
	v_fma_f16 v33, v29, s19, v33
	v_add_f16_sdwa v40, v20, v33 dst_sel:DWORD dst_unused:UNUSED_PAD src0_sel:WORD_1 src1_sel:DWORD
	v_mul_f16_sdwa v33, v29, s23 dst_sel:DWORD dst_unused:UNUSED_PAD src0_sel:WORD_1 src1_sel:DWORD
	s_movk_i32 s1, 0x2fb7
	v_add_f16_sdwa v36, v20, v34 dst_sel:DWORD dst_unused:UNUSED_PAD src0_sel:WORD_1 src1_sel:DWORD
	v_fma_f16 v34, v30, s1, v33
	v_pk_add_f16 v21, v20, v22
	v_add_f16_e32 v41, v20, v34
	v_mul_f16_sdwa v34, v30, s1 dst_sel:DWORD dst_unused:UNUSED_PAD src0_sel:WORD_1 src1_sel:DWORD
	v_fma_f16 v33, v30, s1, -v33
	v_pk_add_f16 v21, v21, v23
	v_add_f16_e32 v43, v20, v33
	v_fma_f16 v33, v29, s23, v34
	s_mov_b32 s8, 0xbb7b
	v_add_u32_e32 v19, 0x800, v9
	v_pk_add_f16 v21, v21, v31
	s_movk_i32 s4, 0x3bf1
	v_add_f16_sdwa v44, v20, v33 dst_sel:DWORD dst_unused:UNUSED_PAD src0_sel:WORD_1 src1_sel:DWORD
	v_mul_f16_sdwa v33, v29, s8 dst_sel:DWORD dst_unused:UNUSED_PAD src0_sel:WORD_1 src1_sel:DWORD
	s_mov_b32 s9, 0xb5ac
	ds_read2_b32 v[37:38], v19 offset0:100 offset1:168
	v_pk_add_f16 v21, v21, v32
	v_fma_f16 v42, v29, s4, v34
	v_fma_f16 v34, v30, s9, v33
	v_pk_add_f16 v21, v21, v11
	v_add_f16_e32 v45, v20, v34
	v_mul_f16_sdwa v34, v30, s9 dst_sel:DWORD dst_unused:UNUSED_PAD src0_sel:WORD_1 src1_sel:DWORD
	v_fma_f16 v33, v30, s9, -v33
	v_pk_add_f16 v21, v21, v12
	v_add_f16_e32 v47, v20, v33
	v_fma_f16 v33, v29, s8, v34
	s_mov_b32 s14, 0xb94e
	v_pk_add_f16 v21, v21, v13
	s_movk_i32 s21, 0x3b7b
	v_add_f16_sdwa v48, v20, v33 dst_sel:DWORD dst_unused:UNUSED_PAD src0_sel:WORD_1 src1_sel:DWORD
	v_mul_f16_sdwa v33, v29, s14 dst_sel:DWORD dst_unused:UNUSED_PAD src0_sel:WORD_1 src1_sel:DWORD
	s_mov_b32 s15, 0xb9fd
	v_pk_add_f16 v21, v21, v14
	v_fma_f16 v46, v29, s21, v34
	v_fma_f16 v34, v30, s15, v33
	s_waitcnt lgkmcnt(0)
	v_pk_add_f16 v21, v21, v37
	v_add_f16_e32 v49, v20, v34
	v_mul_f16_sdwa v34, v30, s15 dst_sel:DWORD dst_unused:UNUSED_PAD src0_sel:WORD_1 src1_sel:DWORD
	v_fma_f16 v33, v30, s15, -v33
	v_pk_add_f16 v21, v21, v38
	s_mov_b32 s20, 0xb770
	v_add_f16_e32 v51, v20, v33
	v_fma_f16 v33, v29, s14, v34
	v_pk_add_f16 v21, v21, v24
	v_pk_mul_f16 v22, v29, s20 op_sel_hi:[1,0]
	s_movk_i32 s7, 0x3b15
	s_movk_i32 s22, 0x394e
	v_add_f16_sdwa v52, v20, v33 dst_sel:DWORD dst_unused:UNUSED_PAD src0_sel:WORD_1 src1_sel:DWORD
	v_pk_add_f16 v33, v23, v24 neg_lo:[0,1] neg_hi:[0,1]
	v_pk_add_f16 v39, v21, v25
	v_pk_fma_f16 v21, v30, s7, v22 op_sel:[0,0,1] op_sel_hi:[1,0,0]
	v_pk_fma_f16 v22, v30, s7, v22 op_sel:[0,0,1] op_sel_hi:[1,0,0] neg_lo:[0,0,1] neg_hi:[0,0,1]
	s_mov_b32 s0, 0xffff
	v_fma_f16 v50, v29, s22, v34
	v_pk_add_f16 v34, v24, v23
	v_pk_mul_f16 v24, v33, s19 op_sel_hi:[1,0]
	v_bfi_b32 v25, s0, v21, v22
	v_pk_fma_f16 v23, v34, s5, v24 op_sel:[0,0,1] op_sel_hi:[1,0,0]
	v_pk_fma_f16 v24, v34, s5, v24 op_sel:[0,0,1] op_sel_hi:[1,0,0] neg_lo:[0,0,1] neg_hi:[0,0,1]
	v_pk_add_f16 v25, v20, v25
	v_bfi_b32 v53, s0, v23, v24
	v_pk_add_f16 v53, v53, v25
	v_mul_f16_sdwa v25, v33, s8 dst_sel:DWORD dst_unused:UNUSED_PAD src0_sel:WORD_1 src1_sel:DWORD
	v_fma_f16 v28, v30, s5, -v28
	v_fma_f16 v54, v34, s9, v25
	v_add_f16_e32 v28, v20, v28
	v_add_f16_e32 v54, v54, v35
	v_mul_f16_sdwa v35, v34, s9 dst_sel:DWORD dst_unused:UNUSED_PAD src0_sel:WORD_1 src1_sel:DWORD
	v_fma_f16 v25, v34, s9, -v25
	v_add_f16_e32 v56, v25, v28
	v_fma_f16 v25, v33, s8, v35
	s_mov_b32 s16, 0xb3a8
	v_add_f16_e32 v40, v25, v40
	v_mul_f16_sdwa v25, v33, s16 dst_sel:DWORD dst_unused:UNUSED_PAD src0_sel:WORD_1 src1_sel:DWORD
	s_mov_b32 s17, 0xbbc4
	v_fma_f16 v28, v34, s17, v25
	v_add_f16_e32 v41, v28, v41
	v_mul_f16_sdwa v28, v34, s17 dst_sel:DWORD dst_unused:UNUSED_PAD src0_sel:WORD_1 src1_sel:DWORD
	v_fma_f16 v25, v34, s17, -v25
	v_add_f16_e32 v43, v25, v43
	v_fma_f16 v25, v33, s16, v28
	s_movk_i32 s24, 0x33a8
	v_add_f16_e32 v44, v25, v44
	v_mul_f16_sdwa v25, v33, s22 dst_sel:DWORD dst_unused:UNUSED_PAD src0_sel:WORD_1 src1_sel:DWORD
	v_fma_f16 v55, v33, s21, v35
	v_fma_f16 v35, v33, s24, v28
	v_fma_f16 v28, v34, s15, v25
	v_add_f16_e32 v45, v28, v45
	v_mul_f16_sdwa v28, v34, s15 dst_sel:DWORD dst_unused:UNUSED_PAD src0_sel:WORD_1 src1_sel:DWORD
	v_fma_f16 v25, v34, s15, -v25
	v_add_f16_e32 v47, v25, v47
	v_fma_f16 v25, v33, s22, v28
	v_add_f16_sdwa v42, v20, v42 dst_sel:DWORD dst_unused:UNUSED_PAD src0_sel:WORD_1 src1_sel:DWORD
	v_add_f16_e32 v48, v25, v48
	v_mul_f16_sdwa v25, v33, s4 dst_sel:DWORD dst_unused:UNUSED_PAD src0_sel:WORD_1 src1_sel:DWORD
	v_add_f16_e32 v42, v35, v42
	v_fma_f16 v35, v33, s14, v28
	v_fma_f16 v28, v34, s1, v25
	v_add_f16_sdwa v46, v20, v46 dst_sel:DWORD dst_unused:UNUSED_PAD src0_sel:WORD_1 src1_sel:DWORD
	v_add_f16_e32 v49, v28, v49
	v_mul_f16_sdwa v28, v34, s1 dst_sel:DWORD dst_unused:UNUSED_PAD src0_sel:WORD_1 src1_sel:DWORD
	v_add_f16_sdwa v50, v20, v50 dst_sel:DWORD dst_unused:UNUSED_PAD src0_sel:WORD_1 src1_sel:DWORD
	v_add_f16_e32 v46, v35, v46
	v_fma_f16 v35, v33, s23, v28
	v_add_f16_e32 v50, v35, v50
	v_fma_f16 v25, v34, s1, -v25
	v_pk_add_f16 v35, v31, v38 neg_lo:[0,1] neg_hi:[0,1]
	v_add_f16_e32 v55, v55, v36
	v_add_f16_e32 v51, v25, v51
	v_fma_f16 v25, v33, s4, v28
	v_pk_add_f16 v36, v38, v31
	v_pk_mul_f16 v28, v35, s23 op_sel_hi:[1,0]
	v_add_f16_e32 v52, v25, v52
	v_pk_fma_f16 v25, v36, s1, v28 op_sel:[0,0,1] op_sel_hi:[1,0,0]
	v_pk_fma_f16 v28, v36, s1, v28 op_sel:[0,0,1] op_sel_hi:[1,0,0] neg_lo:[0,0,1] neg_hi:[0,0,1]
	v_bfi_b32 v31, s0, v25, v28
	v_pk_add_f16 v53, v31, v53
	v_mul_f16_sdwa v31, v35, s16 dst_sel:DWORD dst_unused:UNUSED_PAD src0_sel:WORD_1 src1_sel:DWORD
	v_fma_f16 v38, v36, s17, v31
	v_add_f16_e32 v54, v38, v54
	v_mul_f16_sdwa v38, v36, s17 dst_sel:DWORD dst_unused:UNUSED_PAD src0_sel:WORD_1 src1_sel:DWORD
	v_fma_f16 v31, v36, s17, -v31
	v_add_f16_e32 v56, v31, v56
	v_fma_f16 v31, v35, s16, v38
	v_add_f16_e32 v40, v31, v40
	v_mul_f16_sdwa v31, v35, s21 dst_sel:DWORD dst_unused:UNUSED_PAD src0_sel:WORD_1 src1_sel:DWORD
	v_fma_f16 v57, v35, s24, v38
	v_fma_f16 v38, v36, s9, v31
	v_add_f16_e32 v41, v38, v41
	v_mul_f16_sdwa v38, v36, s9 dst_sel:DWORD dst_unused:UNUSED_PAD src0_sel:WORD_1 src1_sel:DWORD
	v_fma_f16 v31, v36, s9, -v31
	v_add_f16_e32 v43, v31, v43
	v_fma_f16 v31, v35, s21, v38
	s_movk_i32 s18, 0x3770
	v_add_f16_e32 v44, v31, v44
	v_mul_f16_sdwa v31, v35, s18 dst_sel:DWORD dst_unused:UNUSED_PAD src0_sel:WORD_1 src1_sel:DWORD
	v_add_f16_e32 v55, v57, v55
	v_fma_f16 v57, v35, s8, v38
	v_fma_f16 v38, v36, s7, v31
	v_add_f16_e32 v45, v38, v45
	v_mul_f16_sdwa v38, v36, s7 dst_sel:DWORD dst_unused:UNUSED_PAD src0_sel:WORD_1 src1_sel:DWORD
	v_fma_f16 v31, v36, s7, -v31
	v_add_f16_e32 v47, v31, v47
	v_fma_f16 v31, v35, s18, v38
	v_add_f16_e32 v48, v31, v48
	v_mul_f16_sdwa v31, v35, s19 dst_sel:DWORD dst_unused:UNUSED_PAD src0_sel:WORD_1 src1_sel:DWORD
	v_add_f16_e32 v42, v57, v42
	v_fma_f16 v57, v35, s20, v38
	v_fma_f16 v38, v36, s5, v31
	v_add_f16_e32 v49, v38, v49
	v_mul_f16_sdwa v38, v36, s5 dst_sel:DWORD dst_unused:UNUSED_PAD src0_sel:WORD_1 src1_sel:DWORD
	v_fma_f16 v31, v36, s5, -v31
	v_add_f16_e32 v46, v57, v46
	v_fma_f16 v57, v35, s6, v38
	v_add_f16_e32 v51, v31, v51
	v_fma_f16 v31, v35, s19, v38
	v_pk_add_f16 v38, v37, v32
	v_pk_add_f16 v37, v32, v37 neg_lo:[0,1] neg_hi:[0,1]
	v_pk_mul_f16 v32, v37, s8 op_sel_hi:[1,0]
	v_add_f16_e32 v52, v31, v52
	v_pk_fma_f16 v31, v38, s9, v32 op_sel:[0,0,1] op_sel_hi:[1,0,0]
	v_pk_fma_f16 v32, v38, s9, v32 op_sel:[0,0,1] op_sel_hi:[1,0,0] neg_lo:[0,0,1] neg_hi:[0,0,1]
	v_add_f16_e32 v50, v57, v50
	v_bfi_b32 v57, s0, v31, v32
	v_pk_add_f16 v53, v57, v53
	v_mul_f16_sdwa v57, v37, s22 dst_sel:DWORD dst_unused:UNUSED_PAD src0_sel:WORD_1 src1_sel:DWORD
	v_fma_f16 v58, v38, s15, v57
	v_add_f16_e32 v54, v58, v54
	v_mul_f16_sdwa v58, v38, s15 dst_sel:DWORD dst_unused:UNUSED_PAD src0_sel:WORD_1 src1_sel:DWORD
	v_fma_f16 v57, v38, s15, -v57
	v_add_f16_e32 v56, v57, v56
	v_fma_f16 v57, v37, s22, v58
	v_add_f16_e32 v40, v57, v40
	v_mul_f16_sdwa v57, v37, s18 dst_sel:DWORD dst_unused:UNUSED_PAD src0_sel:WORD_1 src1_sel:DWORD
	v_fma_f16 v59, v37, s14, v58
	v_fma_f16 v58, v38, s7, v57
	v_add_f16_e32 v41, v58, v41
	v_mul_f16_sdwa v58, v38, s7 dst_sel:DWORD dst_unused:UNUSED_PAD src0_sel:WORD_1 src1_sel:DWORD
	v_fma_f16 v57, v38, s7, -v57
	v_add_f16_e32 v43, v57, v43
	v_fma_f16 v57, v37, s18, v58
	v_add_f16_e32 v44, v57, v44
	v_mul_f16_sdwa v57, v37, s23 dst_sel:DWORD dst_unused:UNUSED_PAD src0_sel:WORD_1 src1_sel:DWORD
	v_add_f16_e32 v55, v59, v55
	v_fma_f16 v59, v37, s20, v58
	v_fma_f16 v58, v38, s1, v57
	v_add_f16_e32 v45, v58, v45
	v_mul_f16_sdwa v58, v38, s1 dst_sel:DWORD dst_unused:UNUSED_PAD src0_sel:WORD_1 src1_sel:DWORD
	v_fma_f16 v57, v38, s1, -v57
	v_add_f16_e32 v47, v57, v47
	v_fma_f16 v57, v37, s23, v58
	v_add_f16_e32 v48, v57, v48
	v_mul_f16_sdwa v57, v37, s24 dst_sel:DWORD dst_unused:UNUSED_PAD src0_sel:WORD_1 src1_sel:DWORD
	v_add_f16_e32 v42, v59, v42
	v_fma_f16 v59, v37, s4, v58
	v_fma_f16 v58, v38, s17, v57
	v_add_f16_e32 v49, v58, v49
	v_mul_f16_sdwa v58, v38, s17 dst_sel:DWORD dst_unused:UNUSED_PAD src0_sel:WORD_1 src1_sel:DWORD
	v_fma_f16 v57, v38, s17, -v57
	v_add_f16_e32 v46, v59, v46
	v_fma_f16 v59, v37, s16, v58
	v_add_f16_e32 v51, v57, v51
	v_fma_f16 v57, v37, s24, v58
	v_pk_add_f16 v58, v11, v14 neg_lo:[0,1] neg_hi:[0,1]
	v_add_f16_e32 v52, v57, v52
	v_pk_add_f16 v57, v14, v11
	v_pk_mul_f16 v14, v58, s14 op_sel_hi:[1,0]
	v_pk_fma_f16 v11, v57, s15, v14 op_sel:[0,0,1] op_sel_hi:[1,0,0]
	v_pk_fma_f16 v14, v57, s15, v14 op_sel:[0,0,1] op_sel_hi:[1,0,0] neg_lo:[0,0,1] neg_hi:[0,0,1]
	v_add_f16_e32 v50, v59, v50
	v_bfi_b32 v59, s0, v11, v14
	v_pk_add_f16 v53, v59, v53
	v_mul_f16_sdwa v59, v58, s4 dst_sel:DWORD dst_unused:UNUSED_PAD src0_sel:WORD_1 src1_sel:DWORD
	v_fma_f16 v60, v57, s1, v59
	v_add_f16_e32 v54, v60, v54
	v_mul_f16_sdwa v60, v57, s1 dst_sel:DWORD dst_unused:UNUSED_PAD src0_sel:WORD_1 src1_sel:DWORD
	v_fma_f16 v59, v57, s1, -v59
	v_add_f16_e32 v56, v59, v56
	v_fma_f16 v59, v58, s4, v60
	v_add_f16_e32 v40, v59, v40
	v_mul_f16_sdwa v59, v58, s19 dst_sel:DWORD dst_unused:UNUSED_PAD src0_sel:WORD_1 src1_sel:DWORD
	v_fma_f16 v61, v58, s23, v60
	v_fma_f16 v60, v57, s5, v59
	v_add_f16_e32 v41, v60, v41
	v_mul_f16_sdwa v60, v57, s5 dst_sel:DWORD dst_unused:UNUSED_PAD src0_sel:WORD_1 src1_sel:DWORD
	v_fma_f16 v59, v57, s5, -v59
	v_add_f16_e32 v43, v59, v43
	v_fma_f16 v59, v58, s19, v60
	v_add_f16_e32 v44, v59, v44
	v_mul_f16_sdwa v59, v58, s24 dst_sel:DWORD dst_unused:UNUSED_PAD src0_sel:WORD_1 src1_sel:DWORD
	v_add_f16_e32 v55, v61, v55
	v_fma_f16 v61, v58, s6, v60
	v_fma_f16 v60, v57, s17, v59
	v_add_f16_e32 v45, v60, v45
	v_mul_f16_sdwa v60, v57, s17 dst_sel:DWORD dst_unused:UNUSED_PAD src0_sel:WORD_1 src1_sel:DWORD
	v_fma_f16 v59, v57, s17, -v59
	v_add_f16_e32 v47, v59, v47
	v_fma_f16 v59, v58, s24, v60
	v_add_f16_e32 v48, v59, v48
	v_mul_f16_sdwa v59, v58, s18 dst_sel:DWORD dst_unused:UNUSED_PAD src0_sel:WORD_1 src1_sel:DWORD
	v_add_f16_e32 v42, v61, v42
	v_fma_f16 v61, v58, s16, v60
	v_fma_f16 v60, v57, s7, v59
	v_add_f16_e32 v49, v60, v49
	v_mul_f16_sdwa v60, v57, s7 dst_sel:DWORD dst_unused:UNUSED_PAD src0_sel:WORD_1 src1_sel:DWORD
	v_fma_f16 v59, v57, s7, -v59
	v_add_f16_e32 v51, v59, v51
	v_fma_f16 v59, v58, s18, v60
	v_add_f16_e32 v52, v59, v52
	v_pk_add_f16 v59, v13, v12
	v_pk_add_f16 v12, v12, v13 neg_lo:[0,1] neg_hi:[0,1]
	v_pk_mul_f16 v13, v12, s16 op_sel_hi:[1,0]
	v_add_f16_e32 v46, v61, v46
	v_fma_f16 v61, v58, s20, v60
	v_pk_fma_f16 v60, v59, s17, v13 op_sel:[0,0,1] op_sel_hi:[1,0,0]
	v_pk_fma_f16 v13, v59, s17, v13 op_sel:[0,0,1] op_sel_hi:[1,0,0] neg_lo:[0,0,1] neg_hi:[0,0,1]
	v_add_f16_e32 v50, v61, v50
	v_bfi_b32 v61, s0, v60, v13
	v_pk_add_f16 v53, v61, v53
	v_mul_f16_sdwa v61, v12, s18 dst_sel:DWORD dst_unused:UNUSED_PAD src0_sel:WORD_1 src1_sel:DWORD
	v_fma_f16 v62, v59, s7, v61
	v_add_f16_e32 v54, v62, v54
	v_mul_f16_sdwa v62, v59, s7 dst_sel:DWORD dst_unused:UNUSED_PAD src0_sel:WORD_1 src1_sel:DWORD
	v_fma_f16 v61, v59, s7, -v61
	v_add_f16_e32 v56, v61, v56
	v_fma_f16 v61, v12, s18, v62
	v_add_f16_e32 v40, v61, v40
	v_mul_f16_sdwa v61, v12, s14 dst_sel:DWORD dst_unused:UNUSED_PAD src0_sel:WORD_1 src1_sel:DWORD
	v_fma_f16 v63, v12, s20, v62
	v_fma_f16 v62, v59, s15, v61
	v_add_f16_e32 v41, v62, v41
	v_mul_f16_sdwa v62, v59, s15 dst_sel:DWORD dst_unused:UNUSED_PAD src0_sel:WORD_1 src1_sel:DWORD
	v_fma_f16 v61, v59, s15, -v61
	v_add_f16_e32 v43, v61, v43
	v_fma_f16 v61, v12, s14, v62
	v_add_f16_e32 v44, v61, v44
	v_mul_f16_sdwa v61, v12, s6 dst_sel:DWORD dst_unused:UNUSED_PAD src0_sel:WORD_1 src1_sel:DWORD
	v_add_f16_e32 v55, v63, v55
	v_fma_f16 v63, v12, s22, v62
	v_fma_f16 v62, v59, s5, v61
	v_add_f16_e32 v45, v62, v45
	v_mul_f16_sdwa v62, v59, s5 dst_sel:DWORD dst_unused:UNUSED_PAD src0_sel:WORD_1 src1_sel:DWORD
	v_fma_f16 v61, v59, s5, -v61
	v_add_f16_e32 v47, v61, v47
	v_fma_f16 v61, v12, s6, v62
	v_add_f16_e32 v48, v61, v48
	v_mul_f16_sdwa v61, v12, s8 dst_sel:DWORD dst_unused:UNUSED_PAD src0_sel:WORD_1 src1_sel:DWORD
	v_add_f16_e32 v42, v63, v42
	v_fma_f16 v63, v12, s19, v62
	v_fma_f16 v62, v59, s9, v61
	v_add_f16_e32 v49, v62, v49
	v_mul_f16_sdwa v62, v59, s9 dst_sel:DWORD dst_unused:UNUSED_PAD src0_sel:WORD_1 src1_sel:DWORD
	v_mad_u32_u24 v18, v5, 48, v9
	v_add_f16_e32 v46, v63, v46
	v_fma_f16 v63, v12, s21, v62
	v_add_f16_e32 v50, v63, v50
	s_barrier
	ds_write2_b32 v18, v39, v53 offset1:1
	v_pack_b32_f16 v39, v41, v42
	v_pack_b32_f16 v41, v54, v55
	ds_write2_b32 v18, v41, v39 offset0:2 offset1:3
	v_pack_b32_f16 v39, v49, v50
	v_pack_b32_f16 v41, v45, v46
	v_pk_mul_f16 v30, v30, s17 op_sel_hi:[1,0]
	ds_write2_b32 v18, v41, v39 offset0:4 offset1:5
	v_pk_fma_f16 v39, v29, s16, v30 op_sel:[0,0,1] op_sel_hi:[1,0,0]
	v_pk_fma_f16 v29, v29, s16, v30 op_sel:[0,0,1] op_sel_hi:[1,0,0] neg_lo:[1,0,0] neg_hi:[1,0,0]
	v_alignbit_b32 v30, s0, v20, 16
	v_pk_mul_f16 v34, v34, s7 op_sel_hi:[1,0]
	v_alignbit_b32 v41, s0, v39, 16
	v_pk_add_f16 v29, v20, v29 op_sel:[1,0] op_sel_hi:[0,1]
	v_pk_add_f16 v30, v30, v39
	v_pk_fma_f16 v39, v33, s18, v34 op_sel:[0,0,1] op_sel_hi:[1,0,0]
	v_pk_fma_f16 v33, v33, s18, v34 op_sel:[0,0,1] op_sel_hi:[1,0,0] neg_lo:[1,0,0] neg_hi:[1,0,0]
	v_pk_add_f16 v29, v33, v29
	v_pk_mul_f16 v33, v36, s15 op_sel_hi:[1,0]
	v_pk_fma_f16 v34, v35, s14, v33 op_sel:[0,0,1] op_sel_hi:[1,0,0]
	v_pk_fma_f16 v33, v35, s14, v33 op_sel:[0,0,1] op_sel_hi:[1,0,0] neg_lo:[1,0,0] neg_hi:[1,0,0]
	v_pk_add_f16 v30, v39, v30
	v_pk_add_f16 v29, v33, v29
	v_pk_mul_f16 v33, v38, s5 op_sel_hi:[1,0]
	v_alignbit_b32 v36, s0, v34, 16
	v_pk_add_f16 v30, v34, v30
	v_pk_fma_f16 v34, v37, s6, v33 op_sel:[0,0,1] op_sel_hi:[1,0,0]
	v_pk_fma_f16 v33, v37, s6, v33 op_sel:[0,0,1] op_sel_hi:[1,0,0] neg_lo:[1,0,0] neg_hi:[1,0,0]
	v_pk_add_f16 v41, v20, v41
	v_alignbit_b32 v42, s0, v39, 16
	v_pk_add_f16 v29, v33, v29
	v_pk_mul_f16 v33, v57, s9 op_sel_hi:[1,0]
	v_pk_add_f16 v41, v42, v41
	v_alignbit_b32 v35, s0, v34, 16
	v_pk_add_f16 v30, v34, v30
	v_pk_fma_f16 v34, v58, s8, v33 op_sel:[0,0,1] op_sel_hi:[1,0,0]
	v_pk_fma_f16 v33, v58, s8, v33 op_sel:[0,0,1] op_sel_hi:[1,0,0] neg_lo:[1,0,0] neg_hi:[1,0,0]
	v_pk_add_f16 v36, v36, v41
	v_pk_add_f16 v29, v33, v29
	v_pk_mul_f16 v33, v59, s1 op_sel_hi:[1,0]
	v_fma_f16 v61, v59, s9, -v61
	v_pk_add_f16 v35, v35, v36
	v_alignbit_b32 v36, s0, v34, 16
	v_pk_add_f16 v30, v34, v30
	v_pk_fma_f16 v34, v12, s4, v33 op_sel:[0,0,1] op_sel_hi:[1,0,0]
	v_add_f16_e32 v51, v61, v51
	v_fma_f16 v61, v12, s8, v62
	v_pk_add_f16 v35, v36, v35
	v_alignbit_b32 v36, s0, v34, 16
	v_pk_fma_f16 v12, v12, s4, v33 op_sel:[0,0,1] op_sel_hi:[1,0,0] neg_lo:[1,0,0] neg_hi:[1,0,0]
	v_pk_add_f16 v35, v36, v35
	v_pk_add_f16 v12, v12, v29
	;; [unrolled: 1-line block ×3, first 2 shown]
	v_add_f16_e32 v52, v61, v52
	v_alignbit_b32 v29, v29, v12, 16
	v_pack_b32_f16 v12, v35, v12
	ds_write2_b32 v18, v12, v29 offset0:6 offset1:7
	v_pack_b32_f16 v12, v47, v48
	v_pack_b32_f16 v29, v51, v52
	ds_write2_b32 v18, v29, v12 offset0:8 offset1:9
	v_pack_b32_f16 v12, v56, v40
	v_pack_b32_f16 v29, v43, v44
	ds_write2_b32 v18, v29, v12 offset0:10 offset1:11
	v_bfi_b32 v12, s0, v22, v21
	v_pk_add_f16 v12, v20, v12
	v_bfi_b32 v20, s0, v24, v23
	v_pk_add_f16 v12, v20, v12
	;; [unrolled: 2-line block ×6, first 2 shown]
	ds_write_b32 v18, v22 offset:48
	s_waitcnt lgkmcnt(0)
	s_barrier
	ds_read_b32 v24, v27
	ds_read2_b32 v[13:14], v17 offset0:93 offset1:161
	ds_read2_b32 v[11:12], v16 offset0:101 offset1:186
	;; [unrolled: 1-line block ×3, first 2 shown]
	v_lshl_add_u32 v28, v10, 2, v0
	v_lshl_add_u32 v29, v8, 2, v0
	ds_read2_b32 v[15:16], v15 offset0:126 offset1:194
	ds_read_b32 v21, v28
	ds_read_b32 v23, v29
	ds_read_b32 v30, v9 offset:3196
	v_cmp_gt_u32_e64 s[0:1], 17, v5
	v_lshrrev_b32_e32 v25, 16, v22
                                        ; implicit-def: $vgpr33
                                        ; implicit-def: $vgpr19
                                        ; implicit-def: $vgpr34
                                        ; implicit-def: $vgpr32
                                        ; implicit-def: $vgpr31
	s_and_saveexec_b64 s[4:5], s[0:1]
	s_cbranch_execz .LBB0_14
; %bb.13:
	v_lshlrev_b32_e32 v19, 2, v7
	v_add3_u32 v22, 0, v19, v26
	v_add_u32_e32 v19, 0x680, v9
	ds_read2_b32 v[19:20], v19 offset0:9 offset1:230
	ds_read_b32 v22, v22
	ds_read_b32 v31, v9 offset:3468
	s_waitcnt lgkmcnt(2)
	v_lshrrev_b32_e32 v33, 16, v19
	s_waitcnt lgkmcnt(1)
	v_lshrrev_b32_e32 v25, 16, v22
	v_lshrrev_b32_e32 v34, 16, v20
	s_waitcnt lgkmcnt(0)
	v_lshrrev_b32_e32 v32, 16, v31
.LBB0_14:
	s_or_b64 exec, exec, s[4:5]
	s_movk_i32 s6, 0x4f
	v_mul_lo_u16_sdwa v35, v5, s6 dst_sel:DWORD dst_unused:UNUSED_PAD src0_sel:BYTE_0 src1_sel:DWORD
	v_mul_lo_u16_sdwa v37, v8, s6 dst_sel:DWORD dst_unused:UNUSED_PAD src0_sel:BYTE_0 src1_sel:DWORD
	;; [unrolled: 1-line block ×3, first 2 shown]
	v_lshrrev_b16_e32 v49, 10, v35
	v_lshrrev_b16_e32 v55, 10, v37
	;; [unrolled: 1-line block ×3, first 2 shown]
	v_mul_lo_u16_e32 v35, 13, v49
	v_mul_lo_u16_e32 v37, 13, v55
	;; [unrolled: 1-line block ×3, first 2 shown]
	v_sub_u16_e32 v50, v5, v35
	v_mov_b32_e32 v35, 3
	v_sub_u16_e32 v56, v8, v37
	v_sub_u16_e32 v58, v10, v42
	v_mul_u32_u24_sdwa v36, v50, v35 dst_sel:DWORD dst_unused:UNUSED_PAD src0_sel:BYTE_0 src1_sel:DWORD
	v_mul_u32_u24_sdwa v39, v56, v35 dst_sel:DWORD dst_unused:UNUSED_PAD src0_sel:BYTE_0 src1_sel:DWORD
	;; [unrolled: 1-line block ×3, first 2 shown]
	s_movk_i32 s4, 0x4ec5
	v_lshlrev_b32_e32 v36, 2, v36
	v_lshlrev_b32_e32 v35, 2, v35
	v_mul_u32_u24_sdwa v45, v7, s4 dst_sel:DWORD dst_unused:UNUSED_PAD src0_sel:WORD_0 src1_sel:DWORD
	global_load_dwordx3 v[36:38], v36, s[12:13]
	v_lshlrev_b32_e32 v39, 2, v39
	global_load_dwordx3 v[42:44], v35, s[12:13]
	v_lshrrev_b32_e32 v35, 18, v45
	v_mul_lo_u16_e32 v35, 13, v35
	v_sub_u16_e32 v35, v7, v35
	v_mul_u32_u24_e32 v45, 3, v35
	v_lshlrev_b32_e32 v45, 2, v45
	global_load_dwordx3 v[39:41], v39, s[12:13]
	s_waitcnt lgkmcnt(6)
	v_lshrrev_b32_e32 v54, 16, v13
	global_load_dwordx3 v[45:47], v45, s[12:13]
	s_waitcnt lgkmcnt(5)
	v_lshrrev_b32_e32 v59, 16, v12
	s_waitcnt lgkmcnt(4)
	v_lshrrev_b32_e32 v60, 16, v17
	v_lshrrev_b32_e32 v64, 16, v11
	s_waitcnt lgkmcnt(3)
	v_lshrrev_b32_e32 v62, 16, v15
	v_lshrrev_b32_e32 v63, 16, v18
	;; [unrolled: 1-line block ×3, first 2 shown]
	s_waitcnt lgkmcnt(0)
	v_lshrrev_b32_e32 v53, 16, v30
	v_lshrrev_b32_e32 v61, 16, v14
	;; [unrolled: 1-line block ×5, first 2 shown]
	s_movk_i32 s7, 0xd0
	s_waitcnt vmcnt(0)
	s_barrier
	v_mul_f16_sdwa v66, v36, v54 dst_sel:DWORD dst_unused:UNUSED_PAD src0_sel:WORD_1 src1_sel:DWORD
	v_mul_f16_sdwa v68, v37, v59 dst_sel:DWORD dst_unused:UNUSED_PAD src0_sel:WORD_1 src1_sel:DWORD
	;; [unrolled: 1-line block ×8, first 2 shown]
	v_fma_f16 v13, v36, v13, v66
	v_fma_f16 v12, v37, v12, v68
	v_mul_f16_sdwa v86, v34, v46 dst_sel:DWORD dst_unused:UNUSED_PAD src0_sel:DWORD src1_sel:WORD_1
	v_mul_f16_sdwa v87, v20, v46 dst_sel:DWORD dst_unused:UNUSED_PAD src0_sel:DWORD src1_sel:WORD_1
	;; [unrolled: 1-line block ×3, first 2 shown]
	v_fma_f16 v17, v38, v17, v70
	v_fma_f16 v38, v38, v60, -v71
	v_fma_f16 v60, v42, v11, v78
	v_mul_f16_sdwa v11, v31, v47 dst_sel:DWORD dst_unused:UNUSED_PAD src0_sel:DWORD src1_sel:WORD_1
	v_mul_f16_sdwa v74, v40, v62 dst_sel:DWORD dst_unused:UNUSED_PAD src0_sel:WORD_1 src1_sel:DWORD
	v_mul_f16_sdwa v76, v41, v63 dst_sel:DWORD dst_unused:UNUSED_PAD src0_sel:WORD_1 src1_sel:DWORD
	;; [unrolled: 1-line block ×3, first 2 shown]
	v_mul_f16_sdwa v84, v33, v45 dst_sel:DWORD dst_unused:UNUSED_PAD src0_sel:DWORD src1_sel:WORD_1
	v_fma_f16 v36, v36, v54, -v67
	v_fma_f16 v37, v37, v59, -v69
	;; [unrolled: 1-line block ×3, first 2 shown]
	v_fma_f16 v64, v20, v46, v86
	v_fma_f16 v34, v34, v46, -v87
	v_fma_f16 v46, v31, v47, v88
	v_fma_f16 v47, v32, v47, -v11
	v_sub_f16_e32 v11, v24, v12
	v_sub_f16_e32 v17, v13, v17
	v_mul_f16_sdwa v75, v40, v15 dst_sel:DWORD dst_unused:UNUSED_PAD src0_sel:WORD_1 src1_sel:DWORD
	v_mul_f16_sdwa v85, v19, v45 dst_sel:DWORD dst_unused:UNUSED_PAD src0_sel:DWORD src1_sel:WORD_1
	v_fma_f16 v54, v40, v15, v74
	v_fma_f16 v59, v41, v18, v76
	v_fma_f16 v41, v41, v63, -v77
	v_fma_f16 v63, v19, v45, v84
	v_sub_f16_e32 v12, v48, v37
	v_fma_f16 v15, v24, 2.0, -v11
	v_sub_f16_e32 v19, v36, v38
	v_fma_f16 v13, v13, 2.0, -v17
	v_mul_f16_sdwa v72, v39, v61 dst_sel:DWORD dst_unused:UNUSED_PAD src0_sel:WORD_1 src1_sel:DWORD
	v_mul_f16_sdwa v73, v39, v14 dst_sel:DWORD dst_unused:UNUSED_PAD src0_sel:WORD_1 src1_sel:DWORD
	;; [unrolled: 1-line block ×3, first 2 shown]
	v_mul_f16_sdwa v82, v53, v44 dst_sel:DWORD dst_unused:UNUSED_PAD src0_sel:DWORD src1_sel:WORD_1
	v_fma_f16 v20, v36, 2.0, -v19
	v_sub_f16_e32 v18, v15, v13
	v_sub_f16_e32 v36, v12, v17
	v_mul_f16_sdwa v81, v43, v16 dst_sel:DWORD dst_unused:UNUSED_PAD src0_sel:WORD_1 src1_sel:DWORD
	v_mul_f16_sdwa v83, v30, v44 dst_sel:DWORD dst_unused:UNUSED_PAD src0_sel:DWORD src1_sel:WORD_1
	v_fma_f16 v14, v39, v14, v72
	v_fma_f16 v39, v39, v61, -v73
	v_fma_f16 v40, v40, v62, -v75
	v_fma_f16 v61, v43, v16, v80
	v_fma_f16 v62, v30, v44, v82
	v_fma_f16 v16, v48, 2.0, -v12
	v_fma_f16 v30, v15, 2.0, -v18
	v_add_f16_e32 v15, v11, v19
	v_fma_f16 v32, v12, 2.0, -v36
	v_sub_f16_e32 v12, v23, v54
	v_fma_f16 v17, v11, 2.0, -v15
	v_fma_f16 v11, v23, 2.0, -v12
	v_sub_f16_e32 v23, v14, v59
	v_fma_f16 v45, v33, v45, -v85
	v_sub_f16_e32 v33, v16, v20
	v_sub_f16_e32 v13, v51, v40
	;; [unrolled: 1-line block ×3, first 2 shown]
	v_fma_f16 v14, v14, 2.0, -v23
	v_fma_f16 v43, v43, v65, -v81
	v_fma_f16 v44, v53, v44, -v83
	v_fma_f16 v31, v16, 2.0, -v33
	v_fma_f16 v19, v51, 2.0, -v13
	;; [unrolled: 1-line block ×3, first 2 shown]
	v_sub_f16_e32 v20, v11, v14
	v_sub_f16_e32 v53, v13, v23
	;; [unrolled: 1-line block ×3, first 2 shown]
	v_fma_f16 v16, v11, 2.0, -v20
	v_add_f16_e32 v11, v12, v24
	v_fma_f16 v39, v13, 2.0, -v53
	v_sub_f16_e32 v13, v21, v61
	v_sub_f16_e32 v23, v52, v43
	;; [unrolled: 1-line block ×3, first 2 shown]
	v_fma_f16 v38, v19, 2.0, -v48
	v_fma_f16 v19, v12, 2.0, -v11
	;; [unrolled: 1-line block ×5, first 2 shown]
	v_sub_f16_e32 v51, v21, v40
	v_sub_f16_e32 v24, v60, v62
	v_fma_f16 v52, v21, 2.0, -v51
	v_add_f16_e32 v21, v13, v37
	v_sub_f16_e32 v37, v25, v34
	v_sub_f16_e32 v40, v45, v47
	;; [unrolled: 1-line block ×3, first 2 shown]
	v_fma_f16 v25, v25, 2.0, -v37
	v_fma_f16 v41, v45, 2.0, -v40
	;; [unrolled: 1-line block ×3, first 2 shown]
	v_sub_f16_e32 v23, v22, v64
	v_sub_f16_e32 v34, v63, v46
	v_sub_f16_e32 v41, v25, v41
	v_fma_f16 v14, v60, 2.0, -v24
	v_fma_f16 v24, v63, 2.0, -v34
	;; [unrolled: 1-line block ×3, first 2 shown]
	v_add_f16_e32 v25, v23, v40
	v_sub_f16_e32 v34, v37, v34
	v_mov_b32_e32 v40, 2
	v_fma_f16 v45, v37, 2.0, -v34
	v_mad_u32_u24 v37, v49, s7, 0
	v_lshlrev_b32_sdwa v43, v40, v50 dst_sel:DWORD dst_unused:UNUSED_PAD src0_sel:DWORD src1_sel:BYTE_0
	v_add3_u32 v37, v37, v43, v26
	v_pack_b32_f16 v43, v30, v31
	v_pack_b32_f16 v44, v17, v32
	ds_write2_b32 v37, v43, v44 offset1:13
	v_pack_b32_f16 v43, v18, v33
	v_pack_b32_f16 v44, v15, v36
	ds_write2_b32 v37, v43, v44 offset0:26 offset1:39
	v_mad_u32_u24 v37, v55, s7, 0
	v_lshlrev_b32_sdwa v43, v40, v56 dst_sel:DWORD dst_unused:UNUSED_PAD src0_sel:DWORD src1_sel:BYTE_0
	v_add3_u32 v37, v37, v43, v26
	v_pack_b32_f16 v43, v16, v38
	v_pack_b32_f16 v44, v19, v39
	v_sub_f16_e32 v14, v12, v14
	ds_write2_b32 v37, v43, v44 offset1:13
	v_pack_b32_f16 v43, v20, v48
	v_pack_b32_f16 v44, v11, v53
	v_fma_f16 v12, v12, 2.0, -v14
	v_fma_f16 v13, v13, 2.0, -v21
	;; [unrolled: 1-line block ×3, first 2 shown]
	ds_write2_b32 v37, v43, v44 offset0:26 offset1:39
	v_mad_u32_u24 v37, v57, s7, 0
	v_lshlrev_b32_sdwa v40, v40, v58 dst_sel:DWORD dst_unused:UNUSED_PAD src0_sel:DWORD src1_sel:BYTE_0
	v_sub_f16_e32 v24, v22, v24
	v_add3_u32 v37, v37, v40, v26
	v_pack_b32_f16 v40, v12, v52
	v_pack_b32_f16 v43, v13, v54
	v_fma_f16 v22, v22, 2.0, -v24
	v_fma_f16 v23, v23, 2.0, -v25
	ds_write2_b32 v37, v40, v43 offset1:13
	v_pack_b32_f16 v40, v14, v51
	v_pack_b32_f16 v43, v21, v42
	ds_write2_b32 v37, v40, v43 offset0:26 offset1:39
	s_and_saveexec_b64 s[4:5], s[0:1]
	s_cbranch_execz .LBB0_16
; %bb.15:
	v_mul_lo_u16_sdwa v37, v7, s6 dst_sel:DWORD dst_unused:UNUSED_PAD src0_sel:BYTE_0 src1_sel:DWORD
	v_lshrrev_b16_e32 v37, 10, v37
	v_mad_u32_u24 v37, v37, s7, 0
	v_lshlrev_b32_e32 v35, 2, v35
	s_mov_b32 s0, 0x5040100
	v_add3_u32 v26, v37, v35, v26
	v_perm_b32 v35, v47, v22, s0
	v_perm_b32 v37, v45, v23, s0
	ds_write2_b32 v26, v35, v37 offset1:13
	v_perm_b32 v35, v41, v24, s0
	v_perm_b32 v37, v34, v25, s0
	ds_write2_b32 v26, v35, v37 offset0:26 offset1:39
.LBB0_16:
	s_or_b64 exec, exec, s[4:5]
	v_cmp_gt_u32_e64 s[0:1], 52, v5
	s_waitcnt lgkmcnt(0)
	s_barrier
	s_waitcnt lgkmcnt(0)
                                        ; implicit-def: $vgpr35
	s_and_saveexec_b64 s[4:5], s[0:1]
	s_cbranch_execz .LBB0_18
; %bb.17:
	v_add_u32_e32 v19, 0x400, v9
	v_add_u32_e32 v13, 0x600, v9
	v_add_u32_e32 v23, 0x800, v9
	v_add_u32_e32 v25, 0xc00, v9
	ds_read_b32 v30, v27
	ds_read2_b32 v[11:12], v19 offset0:108 offset1:160
	ds_read2_b32 v[13:14], v13 offset0:84 offset1:136
	ds_read2_b32 v[17:18], v9 offset0:52 offset1:104
	ds_read2_b32 v[15:16], v9 offset0:156 offset1:208
	ds_read2_b32 v[19:20], v19 offset0:4 offset1:56
	ds_read2_b32 v[21:22], v23 offset0:60 offset1:112
	ds_read2_b32 v[23:24], v23 offset0:164 offset1:216
	ds_read2_b32 v[25:26], v25 offset0:12 offset1:64
	s_waitcnt lgkmcnt(8)
	v_lshrrev_b32_e32 v31, 16, v30
	s_waitcnt lgkmcnt(7)
	v_lshrrev_b32_e32 v52, 16, v12
	;; [unrolled: 2-line block ×3, first 2 shown]
	v_lshrrev_b32_e32 v51, 16, v14
	s_waitcnt lgkmcnt(2)
	v_lshrrev_b32_e32 v42, 16, v21
	v_lshrrev_b32_e32 v47, 16, v22
	s_waitcnt lgkmcnt(1)
	v_lshrrev_b32_e32 v45, 16, v23
	;; [unrolled: 3-line block ×3, first 2 shown]
	v_lshrrev_b32_e32 v35, 16, v26
	v_lshrrev_b32_e32 v32, 16, v17
	;; [unrolled: 1-line block ×8, first 2 shown]
.LBB0_18:
	s_or_b64 exec, exec, s[4:5]
	s_barrier
	s_and_saveexec_b64 s[4:5], s[0:1]
	s_cbranch_execz .LBB0_20
; %bb.19:
	v_lshlrev_b32_e32 v37, 4, v5
	v_add_u32_e32 v40, 0xfffffcc0, v37
	v_cndmask_b32_e64 v43, v40, v37, s[0:1]
	v_mov_b32_e32 v44, 0
	v_lshlrev_b64 v[43:44], 2, v[43:44]
	v_mov_b32_e32 v37, s13
	v_add_co_u32_e64 v43, s[0:1], s12, v43
	v_addc_co_u32_e64 v44, s[0:1], v37, v44, s[0:1]
	global_load_dwordx4 v[55:58], v[43:44], off offset:156
	global_load_dwordx4 v[59:62], v[43:44], off offset:204
	;; [unrolled: 1-line block ×4, first 2 shown]
	s_movk_i32 s0, 0x39e9
	s_movk_i32 s1, 0x2de8
	s_mov_b32 s6, 0xb8d2
	s_mov_b32 s7, 0xbbdd
	s_mov_b32 s8, 0xbacd
	s_mov_b32 s9, 0xb461
	s_movk_i32 s14, 0x3722
	s_movk_i32 s15, 0x3b76
	;; [unrolled: 1-line block ×4, first 2 shown]
	s_mov_b32 s21, 0xb5c8
	s_mov_b32 s20, 0xbb29
	;; [unrolled: 1-line block ×6, first 2 shown]
	s_waitcnt vmcnt(3)
	v_mul_f16_sdwa v37, v32, v55 dst_sel:DWORD dst_unused:UNUSED_PAD src0_sel:DWORD src1_sel:WORD_1
	s_waitcnt vmcnt(2)
	v_mul_f16_sdwa v43, v35, v62 dst_sel:DWORD dst_unused:UNUSED_PAD src0_sel:DWORD src1_sel:WORD_1
	v_mul_f16_sdwa v44, v26, v62 dst_sel:DWORD dst_unused:UNUSED_PAD src0_sel:DWORD src1_sel:WORD_1
	v_mul_f16_sdwa v46, v17, v55 dst_sel:DWORD dst_unused:UNUSED_PAD src0_sel:DWORD src1_sel:WORD_1
	v_mul_f16_sdwa v49, v33, v56 dst_sel:DWORD dst_unused:UNUSED_PAD src0_sel:DWORD src1_sel:WORD_1
	v_mul_f16_sdwa v50, v34, v61 dst_sel:DWORD dst_unused:UNUSED_PAD src0_sel:DWORD src1_sel:WORD_1
	s_waitcnt vmcnt(1)
	v_mul_f16_sdwa v85, v48, v73 dst_sel:DWORD dst_unused:UNUSED_PAD src0_sel:DWORD src1_sel:WORD_1
	v_fma_f16 v40, v17, v55, v37
	v_fma_f16 v26, v26, v62, v43
	v_mul_f16_sdwa v67, v25, v61 dst_sel:DWORD dst_unused:UNUSED_PAD src0_sel:DWORD src1_sel:WORD_1
	v_mul_f16_sdwa v68, v18, v56 dst_sel:DWORD dst_unused:UNUSED_PAD src0_sel:DWORD src1_sel:WORD_1
	;; [unrolled: 1-line block ×5, first 2 shown]
	s_waitcnt vmcnt(0)
	v_mul_f16_sdwa v83, v22, v66 dst_sel:DWORD dst_unused:UNUSED_PAD src0_sel:DWORD src1_sel:WORD_1
	v_mul_f16_sdwa v84, v19, v72 dst_sel:DWORD dst_unused:UNUSED_PAD src0_sel:DWORD src1_sel:WORD_1
	;; [unrolled: 1-line block ×5, first 2 shown]
	v_fma_f16 v17, v35, v62, -v44
	v_fma_f16 v32, v32, v55, -v46
	v_fma_f16 v43, v18, v56, v49
	v_fma_f16 v35, v25, v61, v50
	;; [unrolled: 1-line block ×3, first 2 shown]
	v_sub_f16_e32 v20, v40, v26
	v_mul_f16_sdwa v71, v24, v60 dst_sel:DWORD dst_unused:UNUSED_PAD src0_sel:DWORD src1_sel:WORD_1
	v_mul_f16_sdwa v76, v15, v57 dst_sel:DWORD dst_unused:UNUSED_PAD src0_sel:DWORD src1_sel:WORD_1
	;; [unrolled: 1-line block ×6, first 2 shown]
	v_fma_f16 v18, v34, v61, -v67
	v_fma_f16 v34, v33, v56, -v68
	v_fma_f16 v44, v15, v57, v69
	v_fma_f16 v37, v24, v60, v70
	;; [unrolled: 1-line block ×3, first 2 shown]
	v_fma_f16 v19, v47, v66, -v83
	v_fma_f16 v39, v39, v72, -v84
	v_fma_f16 v47, v21, v65, v86
	v_fma_f16 v33, v42, v65, -v87
	v_add_f16_e32 v72, v32, v17
	v_sub_f16_e32 v21, v43, v35
	v_mul_f16_e32 v87, 0xb964, v20
	v_mul_f16_sdwa v80, v16, v58 dst_sel:DWORD dst_unused:UNUSED_PAD src0_sel:DWORD src1_sel:WORD_1
	v_fma_f16 v15, v41, v60, -v71
	v_fma_f16 v36, v36, v57, -v76
	v_fma_f16 v46, v16, v58, v77
	v_fma_f16 v41, v23, v59, v78
	v_fma_f16 v16, v45, v59, -v79
	v_fma_f16 v45, v22, v66, v82
	v_fma_f16 v42, v48, v73, -v88
	v_add_f16_e32 v71, v34, v18
	v_sub_f16_e32 v22, v44, v37
	v_mul_f16_e32 v86, 0xbbf7, v21
	v_fma_f16 v48, v72, s0, v87
	v_fma_f16 v38, v38, v58, -v80
	v_add_f16_e32 v70, v36, v15
	v_sub_f16_e32 v23, v46, v41
	v_mul_f16_e32 v84, 0xba62, v22
	v_fma_f16 v55, v71, s1, v86
	v_add_f16_e32 v48, v31, v48
	v_add_f16_e32 v69, v38, v16
	v_sub_f16_e32 v24, v49, v45
	v_mul_f16_e32 v83, 0xb1e1, v23
	v_fma_f16 v56, v70, s6, v84
	v_add_f16_e32 v48, v55, v48
	;; [unrolled: 5-line block ×3, first 2 shown]
	v_add_f16_e32 v67, v42, v33
	v_mul_f16_e32 v80, 0x3bb2, v25
	v_fma_f16 v58, v68, s8, v81
	v_add_f16_e32 v48, v57, v48
	v_fma_f16 v59, v67, s9, v80
	v_add_f16_e32 v48, v58, v48
	v_add_f16_e32 v55, v59, v48
	v_mul_f16_sdwa v48, v53, v74 dst_sel:DWORD dst_unused:UNUSED_PAD src0_sel:DWORD src1_sel:WORD_1
	v_fma_f16 v62, v11, v74, v48
	v_mul_f16_sdwa v48, v51, v64 dst_sel:DWORD dst_unused:UNUSED_PAD src0_sel:DWORD src1_sel:WORD_1
	v_fma_f16 v60, v14, v64, v48
	v_mul_f16_sdwa v14, v14, v64 dst_sel:DWORD dst_unused:UNUSED_PAD src0_sel:DWORD src1_sel:WORD_1
	v_fma_f16 v51, v51, v64, -v14
	v_mul_f16_sdwa v14, v52, v75 dst_sel:DWORD dst_unused:UNUSED_PAD src0_sel:DWORD src1_sel:WORD_1
	v_mul_f16_sdwa v11, v11, v74 dst_sel:DWORD dst_unused:UNUSED_PAD src0_sel:DWORD src1_sel:WORD_1
	v_fma_f16 v65, v12, v75, v14
	v_mul_f16_sdwa v14, v54, v63 dst_sel:DWORD dst_unused:UNUSED_PAD src0_sel:DWORD src1_sel:WORD_1
	v_sub_f16_e32 v48, v62, v60
	v_fma_f16 v53, v53, v74, -v11
	v_fma_f16 v66, v13, v63, v14
	v_mul_f16_sdwa v13, v13, v63 dst_sel:DWORD dst_unused:UNUSED_PAD src0_sel:DWORD src1_sel:WORD_1
	v_mul_f16_sdwa v12, v12, v75 dst_sel:DWORD dst_unused:UNUSED_PAD src0_sel:DWORD src1_sel:WORD_1
	v_mul_f16_e32 v92, 0x3b29, v48
	v_add_f16_e32 v74, v53, v51
	v_sub_f16_e32 v14, v65, v66
	v_fma_f16 v58, v54, v63, -v13
	v_fma_f16 v61, v52, v75, -v12
	v_fma_f16 v11, v74, s14, v92
	v_mul_f16_e32 v93, 0x35c8, v14
	v_add_f16_e32 v76, v61, v58
	v_sub_f16_e32 v77, v32, v17
	v_add_f16_e32 v11, v11, v55
	v_fma_f16 v12, v76, s15, v93
	v_add_f16_e32 v13, v40, v26
	v_mul_f16_e32 v94, 0xb964, v77
	v_sub_f16_e32 v78, v34, v18
	v_add_f16_e32 v11, v12, v11
	v_fma_f16 v12, v13, s0, -v94
	v_add_f16_e32 v52, v43, v35
	v_mul_f16_e32 v96, 0xbbf7, v78
	v_add_f16_e32 v12, v30, v12
	v_fma_f16 v54, v52, s1, -v96
	v_sub_f16_e32 v79, v36, v15
	v_add_f16_e32 v12, v54, v12
	v_add_f16_e32 v54, v44, v37
	v_mul_f16_e32 v97, 0xba62, v79
	v_fma_f16 v55, v54, s6, -v97
	v_sub_f16_e32 v82, v38, v16
	v_add_f16_e32 v12, v55, v12
	v_add_f16_e32 v55, v46, v41
	v_mul_f16_e32 v98, 0xb1e1, v82
	;; [unrolled: 5-line block ×6, first 2 shown]
	v_fma_f16 v64, v63, s15, -v102
	v_mul_f16_e32 v104, 0xbb29, v20
	v_add_f16_e32 v12, v64, v12
	v_fma_f16 v64, v72, s14, v104
	v_mul_f16_e32 v105, 0xba62, v21
	v_add_f16_e32 v64, v31, v64
	v_fma_f16 v73, v71, s6, v105
	;; [unrolled: 3-line block ×8, first 2 shown]
	v_mul_f16_e32 v112, 0xbb29, v77
	v_add_f16_e32 v64, v73, v64
	v_fma_f16 v73, v13, s14, -v112
	v_mul_f16_e32 v113, 0xba62, v78
	v_add_f16_e32 v73, v30, v73
	v_fma_f16 v75, v52, s6, -v113
	;; [unrolled: 3-line block ×8, first 2 shown]
	v_mul_f16_e32 v120, 0xbbf7, v20
	v_add_f16_e32 v73, v75, v73
	v_fma_f16 v75, v72, s1, v120
	v_mul_f16_e32 v121, 0xb1e1, v21
	v_add_f16_e32 v75, v31, v75
	v_fma_f16 v91, v71, s7, v121
	;; [unrolled: 3-line block ×8, first 2 shown]
	v_mul_f16_e32 v128, 0xbbf7, v77
	v_add_f16_e32 v75, v91, v75
	v_fma_f16 v91, v13, s1, -v128
	v_mul_f16_e32 v129, 0xb1e1, v78
	v_add_f16_e32 v91, v30, v91
	v_fma_f16 v95, v52, s7, -v129
	;; [unrolled: 3-line block ×8, first 2 shown]
	v_mul_f16_e32 v136, 0xbbb2, v20
	v_add_f16_e32 v91, v95, v91
	v_fma_f16 v95, v72, s9, v136
	v_mul_f16_e32 v137, 0x3836, v21
	v_add_f16_e32 v95, v31, v95
	v_fma_f16 v103, v71, s8, v137
	;; [unrolled: 3-line block ×8, first 2 shown]
	v_mul_f16_e32 v144, 0xbbb2, v77
	v_add_f16_e32 v95, v103, v95
	v_fma_f16 v103, v13, s9, -v144
	v_mul_f16_e32 v145, 0x3836, v78
	v_add_f16_e32 v103, v30, v103
	v_fma_f16 v146, v52, s8, -v145
	v_add_f16_e32 v103, v146, v103
	v_mul_f16_e32 v146, 0x3964, v79
	v_fma_f16 v147, v54, s0, -v146
	v_add_f16_e32 v103, v147, v103
	v_mul_f16_e32 v147, 0xbb29, v82
	;; [unrolled: 3-line block ×7, first 2 shown]
	v_fma_f16 v153, v72, s6, v152
	v_mul_f16_e32 v154, 0x3bb2, v21
	v_add_f16_e32 v153, v31, v153
	v_fma_f16 v155, v71, s9, v154
	v_add_f16_e32 v153, v155, v153
	v_mul_f16_e32 v155, 0xb5c8, v22
	v_fma_f16 v156, v70, s15, v155
	v_add_f16_e32 v153, v156, v153
	v_mul_f16_e32 v156, 0xb836, v23
	;; [unrolled: 3-line block ×7, first 2 shown]
	v_fma_f16 v162, v13, s6, -v161
	v_mul_f16_e32 v163, 0x3bb2, v78
	v_add_f16_e32 v162, v30, v162
	v_fma_f16 v164, v52, s9, -v163
	v_add_f16_e32 v162, v164, v162
	v_mul_f16_e32 v164, 0xb5c8, v79
	v_fma_f16 v165, v54, s15, -v164
	v_add_f16_e32 v162, v165, v162
	v_mul_f16_e32 v165, 0xb836, v82
	;; [unrolled: 3-line block ×7, first 2 shown]
	v_fma_f16 v171, v72, s8, v170
	v_mul_f16_e32 v172, 0x3b29, v21
	v_add_f16_e32 v171, v31, v171
	v_fma_f16 v173, v71, s14, v172
	v_add_f16_e32 v171, v173, v171
	v_mul_f16_e32 v173, 0xbbf7, v22
	v_fma_f16 v174, v70, s1, v173
	v_add_f16_e32 v171, v174, v171
	v_mul_f16_e32 v174, 0x3a62, v23
	;; [unrolled: 3-line block ×7, first 2 shown]
	v_fma_f16 v180, v13, s8, -v179
	v_mul_f16_e32 v181, 0x3b29, v78
	v_add_f16_e32 v180, v30, v180
	v_fma_f16 v182, v52, s14, -v181
	v_add_f16_e32 v180, v182, v180
	v_mul_f16_e32 v182, 0xbbf7, v79
	v_fma_f16 v183, v54, s1, -v182
	v_add_f16_e32 v180, v183, v180
	v_mul_f16_e32 v183, 0x3a62, v82
	;; [unrolled: 3-line block ×3, first 2 shown]
	v_fma_f16 v185, v56, s15, -v184
	v_fma_f16 v87, v72, s0, -v87
	v_add_f16_e32 v180, v185, v180
	v_mul_f16_e32 v185, 0xb1e1, v88
	v_add_f16_e32 v87, v31, v87
	v_fma_f16 v86, v71, s1, -v86
	v_fma_f16 v186, v57, s7, -v185
	v_add_f16_e32 v86, v86, v87
	v_fma_f16 v84, v70, s6, -v84
	v_add_f16_e32 v180, v186, v180
	v_mul_f16_e32 v186, 0x3964, v89
	v_add_f16_e32 v84, v84, v86
	v_fma_f16 v83, v69, s7, -v83
	v_fma_f16 v187, v59, s0, -v186
	v_add_f16_e32 v83, v83, v84
	;; [unrolled: 7-line block ×3, first 2 shown]
	v_fma_f16 v81, v74, s14, -v92
	v_add_f16_e32 v180, v188, v180
	v_mul_f16_e32 v188, 0xb1e1, v20
	v_add_f16_e32 v80, v81, v80
	v_fma_f16 v81, v76, s15, -v93
	v_fma_f16 v189, v72, s7, v188
	v_mul_f16_e32 v190, 0x35c8, v21
	v_add_f16_e32 v80, v81, v80
	v_fma_f16 v81, v13, s0, v94
	v_add_f16_e32 v189, v31, v189
	v_fma_f16 v191, v71, s15, v190
	v_add_f16_e32 v81, v30, v81
	v_fma_f16 v83, v52, s1, v96
	v_add_f16_e32 v32, v31, v32
	v_add_f16_e32 v189, v191, v189
	v_mul_f16_e32 v191, 0xb836, v22
	v_add_f16_e32 v81, v83, v81
	v_fma_f16 v83, v54, s6, v97
	v_add_f16_e32 v32, v32, v34
	v_fma_f16 v192, v70, s8, v191
	v_add_f16_e32 v81, v83, v81
	v_fma_f16 v83, v55, s7, v98
	v_add_f16_e32 v32, v32, v36
	v_add_f16_e32 v189, v192, v189
	;; [unrolled: 9-line block ×3, first 2 shown]
	v_mul_f16_e32 v193, 0xba62, v24
	v_add_f16_e32 v81, v83, v81
	v_fma_f16 v83, v59, s14, v101
	v_add_f16_e32 v32, v32, v42
	v_fma_f16 v194, v68, s6, v193
	v_fma_f16 v188, v72, s7, -v188
	v_fma_f16 v170, v72, s8, -v170
	;; [unrolled: 1-line block ×6, first 2 shown]
	v_add_f16_e32 v81, v83, v81
	v_fma_f16 v83, v63, s15, v102
	v_mul_f16_e32 v72, 0x3b76, v72
	v_add_f16_e32 v32, v32, v53
	v_add_f16_e32 v189, v194, v189
	v_mul_f16_e32 v194, 0x3b29, v25
	v_add_f16_e32 v188, v31, v188
	v_fma_f16 v190, v71, s15, -v190
	v_add_f16_e32 v170, v31, v170
	v_fma_f16 v172, v71, s14, -v172
	v_add_f16_e32 v152, v31, v152
	v_fma_f16 v154, v71, s9, -v154
	v_add_f16_e32 v136, v31, v136
	v_fma_f16 v137, v71, s8, -v137
	v_add_f16_e32 v120, v31, v120
	v_fma_f16 v121, v71, s7, -v121
	v_add_f16_e32 v104, v31, v104
	v_fma_f16 v105, v71, s6, -v105
	v_add_f16_e32 v81, v83, v81
	v_fma_f16 v83, v20, s16, v72
	v_mul_f16_e32 v71, 0x39e9, v71
	v_add_f16_e32 v32, v32, v61
	v_fma_f16 v195, v67, s14, v194
	v_add_f16_e32 v188, v190, v188
	v_fma_f16 v190, v70, s8, -v191
	v_add_f16_e32 v170, v172, v170
	v_fma_f16 v172, v70, s1, -v173
	;; [unrolled: 2-line block ×6, first 2 shown]
	v_add_f16_e32 v83, v31, v83
	v_fma_f16 v84, v21, s17, v71
	s_movk_i32 s16, 0x3b29
	v_mul_f16_e32 v70, 0x3722, v70
	v_add_f16_e32 v32, v32, v58
	v_add_f16_e32 v189, v195, v189
	v_mul_f16_e32 v195, 0xbbb2, v48
	v_add_f16_e32 v188, v190, v188
	v_fma_f16 v190, v69, s0, -v192
	v_add_f16_e32 v170, v172, v170
	v_fma_f16 v172, v69, s6, -v174
	v_add_f16_e32 v152, v154, v152
	v_fma_f16 v154, v69, s8, -v156
	v_add_f16_e32 v136, v137, v136
	v_fma_f16 v137, v69, s14, -v139
	v_add_f16_e32 v120, v121, v120
	v_fma_f16 v121, v69, s15, -v123
	v_add_f16_e32 v104, v105, v104
	v_fma_f16 v105, v69, s9, -v107
	v_add_f16_e32 v83, v84, v83
	v_fma_f16 v84, v22, s16, v70
	s_movk_i32 s16, 0x3bf7
	v_mul_f16_e32 v69, 0x2de8, v69
	v_add_f16_e32 v32, v32, v51
	v_fma_f16 v196, v74, s9, v195
	v_add_f16_e32 v188, v190, v188
	v_fma_f16 v190, v68, s6, -v193
	v_add_f16_e32 v170, v172, v170
	v_fma_f16 v172, v68, s15, -v175
	;; [unrolled: 2-line block ×6, first 2 shown]
	v_add_f16_e32 v83, v84, v83
	v_fma_f16 v84, v23, s16, v69
	s_movk_i32 s16, 0x3bb2
	v_mul_f16_e32 v68, 0xb461, v68
	v_add_f16_e32 v32, v32, v33
	v_add_f16_e32 v189, v196, v189
	v_mul_f16_e32 v196, 0x3bf7, v14
	v_add_f16_e32 v188, v190, v188
	v_fma_f16 v190, v67, s14, -v194
	v_add_f16_e32 v170, v172, v170
	v_fma_f16 v172, v67, s7, -v176
	;; [unrolled: 2-line block ×6, first 2 shown]
	v_add_f16_e32 v83, v84, v83
	v_fma_f16 v84, v24, s16, v68
	s_movk_i32 s16, 0x3a62
	v_mul_f16_e32 v67, 0xb8d2, v67
	v_add_f16_e32 v19, v32, v19
	v_fma_f16 v197, v76, s1, v196
	v_add_f16_e32 v188, v190, v188
	v_fma_f16 v190, v74, s9, -v195
	v_add_f16_e32 v170, v172, v170
	v_fma_f16 v172, v74, s0, -v177
	;; [unrolled: 2-line block ×6, first 2 shown]
	v_add_f16_e32 v83, v84, v83
	v_fma_f16 v84, v25, s16, v67
	s_movk_i32 s16, 0x3836
	v_mul_f16_e32 v74, 0xbacd, v74
	v_add_f16_e32 v40, v30, v40
	v_add_f16_e32 v16, v19, v16
	;; [unrolled: 1-line block ×3, first 2 shown]
	v_mul_f16_e32 v197, 0xb1e1, v77
	v_add_f16_e32 v188, v190, v188
	v_fma_f16 v190, v76, s1, -v196
	v_add_f16_e32 v170, v172, v170
	v_fma_f16 v172, v76, s9, -v178
	;; [unrolled: 2-line block ×6, first 2 shown]
	v_add_f16_e32 v83, v84, v83
	v_fma_f16 v84, v48, s16, v74
	s_movk_i32 s16, 0x31e1
	v_mul_f16_e32 v76, 0xbbdd, v76
	v_add_f16_e32 v40, v40, v43
	v_add_f16_e32 v15, v16, v15
	v_fma_f16 v198, v13, s7, -v197
	v_mul_f16_e32 v199, 0x35c8, v78
	v_add_f16_e32 v83, v84, v83
	v_fma_f16 v84, v14, s16, v76
	v_add_f16_e32 v40, v40, v44
	s_mov_b32 s16, 0xb964
	v_add_f16_e32 v15, v15, v18
	v_fma_f16 v16, v20, s21, v72
	v_add_f16_e32 v198, v30, v198
	v_fma_f16 v200, v52, s15, -v199
	v_add_f16_e32 v40, v40, v46
	v_add_f16_e32 v15, v15, v17
	;; [unrolled: 1-line block ×3, first 2 shown]
	v_fma_f16 v17, v21, s16, v71
	v_add_f16_e32 v198, v200, v198
	v_mul_f16_e32 v200, 0xb836, v79
	v_mul_f16_e32 v77, 0xb5c8, v77
	v_add_f16_e32 v40, v40, v49
	s_mov_b32 s17, 0xbbf7
	v_add_f16_e32 v16, v17, v16
	v_fma_f16 v17, v22, s20, v70
	v_fma_f16 v201, v54, s8, -v200
	v_add_f16_e32 v83, v84, v83
	v_fma_f16 v84, v13, s15, v77
	v_mul_f16_e32 v78, 0xb964, v78
	v_add_f16_e32 v40, v40, v50
	v_add_f16_e32 v16, v17, v16
	v_fma_f16 v17, v23, s17, v69
	v_add_f16_e32 v198, v201, v198
	v_mul_f16_e32 v201, 0x3964, v82
	v_add_f16_e32 v84, v30, v84
	v_fma_f16 v86, v52, s0, v78
	v_mul_f16_e32 v79, 0xbb29, v79
	v_add_f16_e32 v40, v40, v62
	v_add_f16_e32 v16, v17, v16
	v_fma_f16 v17, v24, s23, v68
	v_fma_f16 v202, v55, s0, -v201
	v_add_f16_e32 v84, v86, v84
	v_fma_f16 v86, v54, s14, v79
	v_mul_f16_e32 v82, 0xbbf7, v82
	v_add_f16_e32 v40, v40, v65
	v_add_f16_e32 v16, v17, v16
	v_fma_f16 v17, v25, s18, v67
	v_add_f16_e32 v198, v202, v198
	v_mul_f16_e32 v202, 0xba62, v85
	v_add_f16_e32 v84, v86, v84
	v_fma_f16 v86, v55, s1, v82
	v_mul_f16_e32 v85, 0xbbb2, v85
	v_add_f16_e32 v40, v40, v66
	v_add_f16_e32 v16, v17, v16
	v_fma_f16 v17, v48, s22, v74
	v_add_f16_e32 v188, v190, v188
	v_fma_f16 v190, v13, s7, v197
	;; [unrolled: 2-line block ×8, first 2 shown]
	v_add_f16_e32 v40, v40, v60
	v_add_f16_e32 v16, v17, v16
	v_fma_f16 v14, v14, s19, v76
	v_fma_f16 v13, v13, s15, -v77
	v_add_f16_e32 v121, v30, v121
	v_fma_f16 v122, v52, s7, v129
	v_add_f16_e32 v105, v30, v105
	v_fma_f16 v106, v52, s6, v113
	v_add_f16_e32 v84, v86, v84
	v_mul_f16_e32 v86, 0xba62, v88
	v_add_f16_e32 v40, v40, v47
	v_add_f16_e32 v14, v14, v16
	;; [unrolled: 1-line block ×3, first 2 shown]
	v_fma_f16 v16, v52, s0, -v78
	v_add_f16_e32 v154, v30, v154
	v_fma_f16 v155, v52, s9, v163
	v_add_f16_e32 v137, v30, v137
	v_fma_f16 v138, v52, s8, v145
	;; [unrolled: 2-line block ×4, first 2 shown]
	v_fma_f16 v87, v57, s6, v86
	v_add_f16_e32 v40, v40, v45
	v_add_f16_e32 v13, v16, v13
	v_fma_f16 v16, v54, s14, -v79
	v_fma_f16 v203, v56, s6, -v202
	v_add_f16_e32 v190, v30, v190
	v_fma_f16 v191, v52, s15, v199
	v_add_f16_e32 v172, v30, v172
	v_fma_f16 v173, v52, s14, v181
	;; [unrolled: 2-line block ×6, first 2 shown]
	v_add_f16_e32 v84, v87, v84
	v_mul_f16_e32 v87, 0xb836, v89
	v_add_f16_e32 v40, v40, v41
	v_add_f16_e32 v13, v16, v13
	v_fma_f16 v16, v55, s1, -v82
	v_add_f16_e32 v198, v203, v198
	v_mul_f16_e32 v203, 0x3b29, v88
	v_add_f16_e32 v190, v191, v190
	v_fma_f16 v191, v54, s8, v200
	v_add_f16_e32 v172, v173, v172
	v_fma_f16 v173, v54, s1, v182
	;; [unrolled: 2-line block ×6, first 2 shown]
	v_fma_f16 v88, v59, s8, v87
	v_add_f16_e32 v37, v40, v37
	v_add_f16_e32 v13, v16, v13
	v_fma_f16 v16, v56, s9, -v85
	v_fma_f16 v204, v57, s14, -v203
	v_add_f16_e32 v190, v191, v190
	v_fma_f16 v191, v55, s0, v201
	v_add_f16_e32 v172, v173, v172
	v_fma_f16 v173, v55, s6, v183
	;; [unrolled: 2-line block ×6, first 2 shown]
	v_add_f16_e32 v84, v88, v84
	v_mul_f16_e32 v88, 0xb1e1, v90
	v_add_f16_e32 v35, v37, v35
	v_add_f16_e32 v13, v16, v13
	v_fma_f16 v16, v57, s6, -v86
	v_add_f16_e32 v198, v204, v198
	v_mul_f16_e32 v204, 0xbbb2, v89
	v_add_f16_e32 v190, v191, v190
	v_fma_f16 v191, v56, s6, v202
	v_add_f16_e32 v172, v173, v172
	v_fma_f16 v173, v56, s15, v184
	;; [unrolled: 2-line block ×6, first 2 shown]
	v_fma_f16 v89, v63, s7, v88
	v_add_f16_e32 v26, v35, v26
	v_add_f16_e32 v13, v16, v13
	v_fma_f16 v16, v59, s8, -v87
	v_fma_f16 v205, v59, s9, -v204
	v_add_f16_e32 v190, v191, v190
	v_fma_f16 v191, v57, s14, v203
	v_add_f16_e32 v172, v173, v172
	v_fma_f16 v173, v57, s7, v185
	;; [unrolled: 2-line block ×6, first 2 shown]
	v_add_f16_e32 v84, v89, v84
	v_add_f16_e32 v13, v16, v13
	v_fma_f16 v16, v63, s7, -v88
	v_pack_b32_f16 v15, v26, v15
	v_add_f16_e32 v198, v205, v198
	v_mul_f16_e32 v205, 0x3bf7, v90
	v_add_f16_e32 v190, v191, v190
	v_fma_f16 v191, v59, s9, v204
	v_add_f16_e32 v172, v173, v172
	v_fma_f16 v173, v59, s0, v186
	v_add_f16_e32 v154, v155, v154
	v_fma_f16 v155, v63, s14, v169
	v_add_f16_e32 v137, v138, v137
	v_fma_f16 v138, v63, s6, v151
	v_add_f16_e32 v121, v122, v121
	v_add_f16_e32 v105, v106, v105
	;; [unrolled: 1-line block ×3, first 2 shown]
	ds_write_b32 v27, v15
	v_pack_b32_f16 v15, v84, v83
	v_pack_b32_f16 v16, v81, v80
	v_add_f16_e32 v190, v191, v190
	v_fma_f16 v191, v63, s1, v205
	v_add_f16_e32 v172, v173, v172
	v_fma_f16 v173, v63, s9, v187
	v_add_f16_e32 v154, v155, v154
	v_add_f16_e32 v137, v138, v137
	ds_write2_b32 v9, v15, v16 offset0:52 offset1:104
	v_pack_b32_f16 v15, v105, v104
	v_pack_b32_f16 v16, v121, v120
	v_fma_f16 v206, v63, s1, -v205
	v_add_f16_e32 v190, v191, v190
	v_add_f16_e32 v172, v173, v172
	ds_write2_b32 v9, v15, v16 offset0:156 offset1:208
	v_pack_b32_f16 v15, v137, v136
	v_pack_b32_f16 v16, v154, v152
	v_add_u32_e32 v17, 0x400, v9
	v_add_f16_e32 v198, v206, v198
	ds_write2_b32 v17, v15, v16 offset0:4 offset1:56
	v_pack_b32_f16 v15, v172, v170
	v_pack_b32_f16 v16, v190, v188
	ds_write2_b32 v17, v15, v16 offset0:108 offset1:160
	v_pack_b32_f16 v15, v198, v189
	v_pack_b32_f16 v16, v180, v171
	v_add_u32_e32 v17, 0x600, v9
	ds_write2_b32 v17, v15, v16 offset0:84 offset1:136
	v_pack_b32_f16 v15, v162, v153
	v_pack_b32_f16 v16, v103, v95
	v_add_u32_e32 v17, 0x800, v9
	ds_write2_b32 v17, v15, v16 offset0:60 offset1:112
	v_pack_b32_f16 v15, v91, v75
	v_pack_b32_f16 v16, v73, v64
	;; [unrolled: 1-line block ×4, first 2 shown]
	v_add_u32_e32 v9, 0xc00, v9
	ds_write2_b32 v17, v15, v16 offset0:164 offset1:216
	ds_write2_b32 v9, v11, v12 offset0:12 offset1:64
.LBB0_20:
	s_or_b64 exec, exec, s[4:5]
	s_waitcnt lgkmcnt(0)
	s_barrier
	ds_read_b32 v9, v27
	v_sub_u32_e32 v14, v0, v6
	v_cmp_ne_u32_e64 s[0:1], 0, v5
                                        ; implicit-def: $vgpr16
                                        ; implicit-def: $vgpr15
                                        ; implicit-def: $vgpr17
                                        ; implicit-def: $vgpr12_vgpr13
	s_and_saveexec_b64 s[4:5], s[0:1]
	s_xor_b64 s[4:5], exec, s[4:5]
	s_cbranch_execz .LBB0_22
; %bb.21:
	v_mov_b32_e32 v6, 0
	v_lshlrev_b64 v[11:12], 2, v[5:6]
	v_mov_b32_e32 v13, s13
	v_add_co_u32_e64 v11, s[0:1], s12, v11
	v_addc_co_u32_e64 v12, s[0:1], v13, v12, s[0:1]
	global_load_dword v11, v[11:12], off offset:3484
	ds_read_b32 v12, v14 offset:3536
	s_waitcnt lgkmcnt(0)
	v_add_f16_sdwa v15, v12, v9 dst_sel:DWORD dst_unused:UNUSED_PAD src0_sel:WORD_1 src1_sel:WORD_1
	v_sub_f16_e32 v16, v9, v12
	v_add_f16_e32 v13, v12, v9
	v_sub_f16_sdwa v9, v9, v12 dst_sel:DWORD dst_unused:UNUSED_PAD src0_sel:WORD_1 src1_sel:WORD_1
	v_mul_f16_e32 v12, 0.5, v15
	v_mul_f16_e32 v15, 0.5, v16
	;; [unrolled: 1-line block ×3, first 2 shown]
	s_waitcnt vmcnt(0)
	v_lshrrev_b32_e32 v16, 16, v11
	v_mul_f16_e32 v18, v16, v15
	v_fma_f16 v17, v12, v16, v9
	v_fma_f16 v9, v12, v16, -v9
	v_fma_f16 v19, v13, 0.5, v18
	v_fma_f16 v13, v13, 0.5, -v18
	v_fma_f16 v17, -v11, v15, v17
	v_fma_f16 v16, -v11, v15, v9
	v_fma_f16 v9, v11, v12, v19
	v_fma_f16 v15, -v11, v12, v13
	v_mov_b32_e32 v13, v6
	ds_write_b16 v27, v9
	v_mov_b32_e32 v12, v5
                                        ; implicit-def: $vgpr9
.LBB0_22:
	s_andn2_saveexec_b64 s[0:1], s[4:5]
	s_cbranch_execz .LBB0_24
; %bb.23:
	ds_read_u16 v6, v0 offset:1770
	v_mov_b32_e32 v12, 0
	s_waitcnt lgkmcnt(1)
	v_add_f16_sdwa v11, v9, v9 dst_sel:DWORD dst_unused:UNUSED_PAD src0_sel:WORD_1 src1_sel:DWORD
	v_sub_f16_sdwa v15, v9, v9 dst_sel:DWORD dst_unused:UNUSED_PAD src0_sel:DWORD src1_sel:WORD_1
	v_mov_b32_e32 v13, 0
	s_waitcnt lgkmcnt(0)
	v_xor_b32_e32 v6, 0x8000, v6
	v_mov_b32_e32 v17, 0
	v_mov_b32_e32 v16, 0
	ds_write_b16 v27, v11
	ds_write_b16 v0, v6 offset:1770
.LBB0_24:
	s_or_b64 exec, exec, s[0:1]
	s_waitcnt lgkmcnt(0)
	v_mov_b32_e32 v9, 0
	v_lshlrev_b64 v[18:19], 2, v[8:9]
	v_mov_b32_e32 v6, s13
	v_add_co_u32_e64 v18, s[0:1], s12, v18
	v_addc_co_u32_e64 v19, s[0:1], v6, v19, s[0:1]
	global_load_dword v6, v[18:19], off offset:3484
	v_mov_b32_e32 v11, v9
	v_lshlrev_b64 v[10:11], 2, v[10:11]
	v_mov_b32_e32 v8, s13
	v_add_co_u32_e64 v10, s[0:1], s12, v10
	v_addc_co_u32_e64 v11, s[0:1], v8, v11, s[0:1]
	global_load_dword v10, v[10:11], off offset:3484
	;; [unrolled: 6-line block ×3, first 2 shown]
	s_add_u32 s0, s12, 0xd9c
	s_mov_b32 s1, 0x5040100
	v_lshlrev_b64 v[8:9], 2, v[12:13]
	s_addc_u32 s4, s13, 0
	v_perm_b32 v12, v16, v15, s1
	ds_write_b16 v27, v17 offset:2
	ds_write_b32 v14, v12 offset:3536
	v_mov_b32_e32 v12, s4
	v_add_co_u32_e64 v8, s[0:1], s0, v8
	v_addc_co_u32_e64 v9, s[0:1], v12, v9, s[0:1]
	global_load_dword v12, v[8:9], off offset:1088
	ds_read_b32 v13, v14 offset:3264
	ds_read_b32 v15, v29
	s_mov_b32 s6, 0xffff
	v_lshl_add_u32 v7, v7, 2, v0
	v_cmp_gt_u32_e64 s[0:1], 34, v5
	s_waitcnt lgkmcnt(0)
	v_pk_add_f16 v16, v15, v13 neg_lo:[0,1] neg_hi:[0,1]
	v_pk_add_f16 v13, v15, v13
	v_bfi_b32 v15, s6, v16, v13
	v_bfi_b32 v13, s6, v13, v16
	v_pk_mul_f16 v15, v15, 0.5 op_sel_hi:[1,0]
	v_pk_mul_f16 v13, v13, 0.5 op_sel_hi:[1,0]
	s_waitcnt vmcnt(3)
	v_pk_fma_f16 v16, v6, v15, v13 op_sel:[1,0,0]
	v_pk_mul_f16 v17, v6, v15 op_sel_hi:[0,1]
	v_pk_fma_f16 v18, v6, v15, v13 op_sel:[1,0,0] neg_lo:[1,0,0] neg_hi:[1,0,0]
	v_pk_fma_f16 v6, v6, v15, v13 op_sel:[1,0,0] neg_lo:[0,0,1] neg_hi:[0,0,1]
	v_pk_add_f16 v13, v16, v17 op_sel:[0,1] op_sel_hi:[1,0]
	v_pk_add_f16 v15, v16, v17 op_sel:[0,1] op_sel_hi:[1,0] neg_lo:[0,1] neg_hi:[0,1]
	v_pk_add_f16 v16, v18, v17 op_sel:[0,1] op_sel_hi:[1,0] neg_lo:[0,1] neg_hi:[0,1]
	;; [unrolled: 1-line block ×3, first 2 shown]
	v_bfi_b32 v13, s6, v13, v15
	v_bfi_b32 v6, s6, v16, v6
	ds_write_b32 v29, v13
	ds_write_b32 v14, v6 offset:3264
	ds_read_b32 v6, v28
	ds_read_b32 v13, v14 offset:2992
	global_load_dword v15, v[8:9], off offset:1360
	s_waitcnt lgkmcnt(0)
	v_pk_add_f16 v16, v6, v13 neg_lo:[0,1] neg_hi:[0,1]
	v_pk_add_f16 v6, v6, v13
	v_bfi_b32 v13, s6, v16, v6
	v_bfi_b32 v6, s6, v6, v16
	v_pk_mul_f16 v13, v13, 0.5 op_sel_hi:[1,0]
	v_pk_mul_f16 v6, v6, 0.5 op_sel_hi:[1,0]
	s_waitcnt vmcnt(3)
	v_pk_fma_f16 v16, v10, v13, v6 op_sel:[1,0,0]
	v_pk_mul_f16 v17, v10, v13 op_sel_hi:[0,1]
	v_pk_fma_f16 v18, v10, v13, v6 op_sel:[1,0,0] neg_lo:[1,0,0] neg_hi:[1,0,0]
	v_pk_fma_f16 v6, v10, v13, v6 op_sel:[1,0,0] neg_lo:[0,0,1] neg_hi:[0,0,1]
	v_pk_add_f16 v10, v16, v17 op_sel:[0,1] op_sel_hi:[1,0]
	v_pk_add_f16 v13, v16, v17 op_sel:[0,1] op_sel_hi:[1,0] neg_lo:[0,1] neg_hi:[0,1]
	v_pk_add_f16 v16, v18, v17 op_sel:[0,1] op_sel_hi:[1,0] neg_lo:[0,1] neg_hi:[0,1]
	;; [unrolled: 1-line block ×3, first 2 shown]
	v_bfi_b32 v10, s6, v10, v13
	v_bfi_b32 v6, s6, v16, v6
	ds_write_b32 v28, v10
	ds_write_b32 v14, v6 offset:2992
	ds_read_b32 v6, v7
	ds_read_b32 v10, v14 offset:2720
	s_waitcnt lgkmcnt(0)
	v_pk_add_f16 v13, v6, v10 neg_lo:[0,1] neg_hi:[0,1]
	v_pk_add_f16 v6, v6, v10
	v_bfi_b32 v10, s6, v13, v6
	v_bfi_b32 v6, s6, v6, v13
	v_pk_mul_f16 v10, v10, 0.5 op_sel_hi:[1,0]
	v_pk_mul_f16 v6, v6, 0.5 op_sel_hi:[1,0]
	s_waitcnt vmcnt(2)
	v_pk_fma_f16 v13, v11, v10, v6 op_sel:[1,0,0]
	v_pk_mul_f16 v16, v11, v10 op_sel_hi:[0,1]
	v_pk_fma_f16 v17, v11, v10, v6 op_sel:[1,0,0] neg_lo:[1,0,0] neg_hi:[1,0,0]
	v_pk_fma_f16 v6, v11, v10, v6 op_sel:[1,0,0] neg_lo:[0,0,1] neg_hi:[0,0,1]
	v_pk_add_f16 v10, v13, v16 op_sel:[0,1] op_sel_hi:[1,0]
	v_pk_add_f16 v11, v13, v16 op_sel:[0,1] op_sel_hi:[1,0] neg_lo:[0,1] neg_hi:[0,1]
	v_pk_add_f16 v13, v17, v16 op_sel:[0,1] op_sel_hi:[1,0] neg_lo:[0,1] neg_hi:[0,1]
	;; [unrolled: 1-line block ×3, first 2 shown]
	v_bfi_b32 v10, s6, v10, v11
	v_bfi_b32 v6, s6, v13, v6
	ds_write_b32 v7, v10
	ds_write_b32 v14, v6 offset:2720
	ds_read_b32 v6, v27 offset:1088
	ds_read_b32 v7, v14 offset:2448
	s_waitcnt lgkmcnt(0)
	v_pk_add_f16 v10, v6, v7 neg_lo:[0,1] neg_hi:[0,1]
	v_pk_add_f16 v6, v6, v7
	v_bfi_b32 v7, s6, v10, v6
	v_bfi_b32 v6, s6, v6, v10
	v_pk_mul_f16 v7, v7, 0.5 op_sel_hi:[1,0]
	v_pk_mul_f16 v6, v6, 0.5 op_sel_hi:[1,0]
	s_waitcnt vmcnt(1)
	v_pk_fma_f16 v10, v12, v7, v6 op_sel:[1,0,0]
	v_pk_mul_f16 v11, v12, v7 op_sel_hi:[0,1]
	v_pk_fma_f16 v13, v12, v7, v6 op_sel:[1,0,0] neg_lo:[1,0,0] neg_hi:[1,0,0]
	v_pk_fma_f16 v6, v12, v7, v6 op_sel:[1,0,0] neg_lo:[0,0,1] neg_hi:[0,0,1]
	v_pk_add_f16 v7, v10, v11 op_sel:[0,1] op_sel_hi:[1,0]
	v_pk_add_f16 v10, v10, v11 op_sel:[0,1] op_sel_hi:[1,0] neg_lo:[0,1] neg_hi:[0,1]
	v_pk_add_f16 v12, v13, v11 op_sel:[0,1] op_sel_hi:[1,0] neg_lo:[0,1] neg_hi:[0,1]
	v_pk_add_f16 v6, v6, v11 op_sel:[0,1] op_sel_hi:[1,0] neg_lo:[0,1] neg_hi:[0,1]
	v_bfi_b32 v7, s6, v7, v10
	v_bfi_b32 v6, s6, v12, v6
	ds_write_b32 v27, v7 offset:1088
	ds_write_b32 v14, v6 offset:2448
	ds_read_b32 v6, v27 offset:1360
	ds_read_b32 v7, v14 offset:2176
	s_waitcnt lgkmcnt(0)
	v_pk_add_f16 v10, v6, v7 neg_lo:[0,1] neg_hi:[0,1]
	v_pk_add_f16 v6, v6, v7
	v_bfi_b32 v7, s6, v10, v6
	v_bfi_b32 v6, s6, v6, v10
	v_pk_mul_f16 v7, v7, 0.5 op_sel_hi:[1,0]
	v_pk_mul_f16 v6, v6, 0.5 op_sel_hi:[1,0]
	s_waitcnt vmcnt(0)
	v_pk_fma_f16 v10, v15, v7, v6 op_sel:[1,0,0]
	v_pk_mul_f16 v11, v15, v7 op_sel_hi:[0,1]
	v_pk_fma_f16 v12, v15, v7, v6 op_sel:[1,0,0] neg_lo:[1,0,0] neg_hi:[1,0,0]
	v_pk_fma_f16 v6, v15, v7, v6 op_sel:[1,0,0] neg_lo:[0,0,1] neg_hi:[0,0,1]
	v_pk_add_f16 v13, v10, v11 op_sel:[0,1] op_sel_hi:[1,0]
	v_pk_add_f16 v10, v10, v11 op_sel:[0,1] op_sel_hi:[1,0] neg_lo:[0,1] neg_hi:[0,1]
	v_pk_add_f16 v12, v12, v11 op_sel:[0,1] op_sel_hi:[1,0] neg_lo:[0,1] neg_hi:[0,1]
	v_pk_add_f16 v6, v6, v11 op_sel:[0,1] op_sel_hi:[1,0] neg_lo:[0,1] neg_hi:[0,1]
	v_bfi_b32 v10, s6, v13, v10
	v_bfi_b32 v6, s6, v12, v6
	ds_write_b32 v27, v10 offset:1360
	ds_write_b32 v14, v6 offset:2176
	s_and_saveexec_b64 s[4:5], s[0:1]
	s_cbranch_execz .LBB0_26
; %bb.25:
	global_load_dword v6, v[8:9], off offset:1632
	ds_read_b32 v7, v27 offset:1632
	ds_read_b32 v8, v14 offset:1904
	s_waitcnt lgkmcnt(0)
	v_pk_add_f16 v9, v7, v8 neg_lo:[0,1] neg_hi:[0,1]
	v_pk_add_f16 v7, v7, v8
	v_bfi_b32 v8, s6, v9, v7
	v_bfi_b32 v7, s6, v7, v9
	v_pk_mul_f16 v8, v8, 0.5 op_sel_hi:[1,0]
	v_pk_mul_f16 v7, v7, 0.5 op_sel_hi:[1,0]
	s_waitcnt vmcnt(0)
	v_pk_fma_f16 v9, v6, v8, v7 op_sel:[1,0,0]
	v_pk_mul_f16 v10, v6, v8 op_sel_hi:[0,1]
	v_pk_fma_f16 v11, v6, v8, v7 op_sel:[1,0,0] neg_lo:[1,0,0] neg_hi:[1,0,0]
	v_pk_fma_f16 v6, v6, v8, v7 op_sel:[1,0,0] neg_lo:[0,0,1] neg_hi:[0,0,1]
	v_pk_add_f16 v7, v9, v10 op_sel:[0,1] op_sel_hi:[1,0]
	v_pk_add_f16 v8, v9, v10 op_sel:[0,1] op_sel_hi:[1,0] neg_lo:[0,1] neg_hi:[0,1]
	v_pk_add_f16 v9, v11, v10 op_sel:[0,1] op_sel_hi:[1,0] neg_lo:[0,1] neg_hi:[0,1]
	;; [unrolled: 1-line block ×3, first 2 shown]
	v_bfi_b32 v7, s6, v7, v8
	v_bfi_b32 v6, s6, v9, v6
	ds_write_b32 v27, v7 offset:1632
	ds_write_b32 v14, v6 offset:1904
.LBB0_26:
	s_or_b64 exec, exec, s[4:5]
	s_waitcnt lgkmcnt(0)
	s_barrier
	s_and_saveexec_b64 s[0:1], vcc
	s_cbranch_execz .LBB0_29
; %bb.27:
	v_mul_lo_u32 v6, s3, v3
	v_mul_lo_u32 v4, s2, v4
	v_mad_u64_u32 v[7:8], s[0:1], s2, v3, 0
	v_lshl_add_u32 v3, v5, 2, v0
	v_mov_b32_e32 v0, s11
	v_add3_u32 v8, v8, v4, v6
	v_lshlrev_b64 v[7:8], 2, v[7:8]
	v_mov_b32_e32 v6, 0
	v_add_co_u32_e32 v4, vcc, s10, v7
	v_addc_co_u32_e32 v7, vcc, v0, v8, vcc
	v_lshlrev_b64 v[0:1], 2, v[1:2]
	ds_read2_b32 v[9:10], v3 offset1:68
	v_add_co_u32_e32 v0, vcc, v4, v0
	v_addc_co_u32_e32 v1, vcc, v7, v1, vcc
	v_lshlrev_b64 v[7:8], 2, v[5:6]
	v_add_u32_e32 v2, 0x400, v3
	v_add_co_u32_e32 v7, vcc, v0, v7
	v_addc_co_u32_e32 v8, vcc, v1, v8, vcc
	s_waitcnt lgkmcnt(0)
	global_store_dword v[7:8], v9, off
	v_add_u32_e32 v7, 0x44, v5
	v_mov_b32_e32 v8, v6
	v_lshlrev_b64 v[7:8], 2, v[7:8]
	s_movk_i32 s0, 0x43
	v_add_co_u32_e32 v7, vcc, v0, v7
	v_addc_co_u32_e32 v8, vcc, v1, v8, vcc
	global_store_dword v[7:8], v10, off
	v_add_u32_e32 v7, 0x88, v5
	v_mov_b32_e32 v8, v6
	ds_read2_b32 v[9:10], v3 offset0:136 offset1:204
	v_lshlrev_b64 v[7:8], 2, v[7:8]
	v_add_co_u32_e32 v7, vcc, v0, v7
	v_addc_co_u32_e32 v8, vcc, v1, v8, vcc
	s_waitcnt lgkmcnt(0)
	global_store_dword v[7:8], v9, off
	v_add_u32_e32 v7, 0xcc, v5
	v_mov_b32_e32 v8, v6
	v_lshlrev_b64 v[7:8], 2, v[7:8]
	v_add_co_u32_e32 v7, vcc, v0, v7
	v_addc_co_u32_e32 v8, vcc, v1, v8, vcc
	global_store_dword v[7:8], v10, off
	v_add_u32_e32 v7, 0x110, v5
	v_mov_b32_e32 v8, v6
	ds_read2_b32 v[9:10], v2 offset0:16 offset1:84
	v_lshlrev_b64 v[7:8], 2, v[7:8]
	v_add_co_u32_e32 v7, vcc, v0, v7
	v_addc_co_u32_e32 v8, vcc, v1, v8, vcc
	s_waitcnt lgkmcnt(0)
	global_store_dword v[7:8], v9, off
	v_add_u32_e32 v7, 0x154, v5
	v_mov_b32_e32 v8, v6
	v_lshlrev_b64 v[7:8], 2, v[7:8]
	v_add_co_u32_e32 v7, vcc, v0, v7
	v_addc_co_u32_e32 v8, vcc, v1, v8, vcc
	global_store_dword v[7:8], v10, off
	v_add_u32_e32 v7, 0x198, v5
	v_mov_b32_e32 v8, v6
	ds_read2_b32 v[9:10], v2 offset0:152 offset1:220
	v_lshlrev_b64 v[7:8], 2, v[7:8]
	v_add_u32_e32 v2, 0x800, v3
	v_add_co_u32_e32 v7, vcc, v0, v7
	v_addc_co_u32_e32 v8, vcc, v1, v8, vcc
	s_waitcnt lgkmcnt(0)
	global_store_dword v[7:8], v9, off
	v_add_u32_e32 v7, 0x1dc, v5
	v_mov_b32_e32 v8, v6
	v_lshlrev_b64 v[7:8], 2, v[7:8]
	v_add_co_u32_e32 v7, vcc, v0, v7
	v_addc_co_u32_e32 v8, vcc, v1, v8, vcc
	global_store_dword v[7:8], v10, off
	v_add_u32_e32 v7, 0x220, v5
	v_mov_b32_e32 v8, v6
	ds_read2_b32 v[9:10], v2 offset0:32 offset1:100
	v_lshlrev_b64 v[7:8], 2, v[7:8]
	v_add_co_u32_e32 v7, vcc, v0, v7
	v_addc_co_u32_e32 v8, vcc, v1, v8, vcc
	s_waitcnt lgkmcnt(0)
	global_store_dword v[7:8], v9, off
	v_add_u32_e32 v7, 0x264, v5
	v_mov_b32_e32 v8, v6
	v_lshlrev_b64 v[7:8], 2, v[7:8]
	v_add_co_u32_e32 v7, vcc, v0, v7
	v_addc_co_u32_e32 v8, vcc, v1, v8, vcc
	global_store_dword v[7:8], v10, off
	v_add_u32_e32 v7, 0x2a8, v5
	v_mov_b32_e32 v8, v6
	ds_read2_b32 v[9:10], v2 offset0:168 offset1:236
	v_lshlrev_b64 v[7:8], 2, v[7:8]
	ds_read_b32 v2, v3 offset:3264
	v_add_co_u32_e32 v7, vcc, v0, v7
	v_addc_co_u32_e32 v8, vcc, v1, v8, vcc
	s_waitcnt lgkmcnt(1)
	global_store_dword v[7:8], v9, off
	v_add_u32_e32 v7, 0x2ec, v5
	v_mov_b32_e32 v8, v6
	v_lshlrev_b64 v[7:8], 2, v[7:8]
	v_add_co_u32_e32 v7, vcc, v0, v7
	v_addc_co_u32_e32 v8, vcc, v1, v8, vcc
	global_store_dword v[7:8], v10, off
	v_add_u32_e32 v7, 0x330, v5
	v_mov_b32_e32 v8, v6
	v_lshlrev_b64 v[6:7], 2, v[7:8]
	v_add_co_u32_e32 v6, vcc, v0, v6
	v_addc_co_u32_e32 v7, vcc, v1, v7, vcc
	v_cmp_eq_u32_e32 vcc, s0, v5
	s_waitcnt lgkmcnt(0)
	global_store_dword v[6:7], v2, off
	s_and_b64 exec, exec, vcc
	s_cbranch_execz .LBB0_29
; %bb.28:
	ds_read_b32 v2, v3 offset:3268
	s_waitcnt lgkmcnt(0)
	global_store_dword v[0:1], v2, off offset:3536
.LBB0_29:
	s_endpgm
	.section	.rodata,"a",@progbits
	.p2align	6, 0x0
	.amdhsa_kernel fft_rtc_back_len884_factors_13_4_17_wgs_204_tpt_68_halfLds_half_op_CI_CI_unitstride_sbrr_R2C_dirReg
		.amdhsa_group_segment_fixed_size 0
		.amdhsa_private_segment_fixed_size 0
		.amdhsa_kernarg_size 104
		.amdhsa_user_sgpr_count 6
		.amdhsa_user_sgpr_private_segment_buffer 1
		.amdhsa_user_sgpr_dispatch_ptr 0
		.amdhsa_user_sgpr_queue_ptr 0
		.amdhsa_user_sgpr_kernarg_segment_ptr 1
		.amdhsa_user_sgpr_dispatch_id 0
		.amdhsa_user_sgpr_flat_scratch_init 0
		.amdhsa_user_sgpr_private_segment_size 0
		.amdhsa_uses_dynamic_stack 0
		.amdhsa_system_sgpr_private_segment_wavefront_offset 0
		.amdhsa_system_sgpr_workgroup_id_x 1
		.amdhsa_system_sgpr_workgroup_id_y 0
		.amdhsa_system_sgpr_workgroup_id_z 0
		.amdhsa_system_sgpr_workgroup_info 0
		.amdhsa_system_vgpr_workitem_id 0
		.amdhsa_next_free_vgpr 207
		.amdhsa_next_free_sgpr 28
		.amdhsa_reserve_vcc 1
		.amdhsa_reserve_flat_scratch 0
		.amdhsa_float_round_mode_32 0
		.amdhsa_float_round_mode_16_64 0
		.amdhsa_float_denorm_mode_32 3
		.amdhsa_float_denorm_mode_16_64 3
		.amdhsa_dx10_clamp 1
		.amdhsa_ieee_mode 1
		.amdhsa_fp16_overflow 0
		.amdhsa_exception_fp_ieee_invalid_op 0
		.amdhsa_exception_fp_denorm_src 0
		.amdhsa_exception_fp_ieee_div_zero 0
		.amdhsa_exception_fp_ieee_overflow 0
		.amdhsa_exception_fp_ieee_underflow 0
		.amdhsa_exception_fp_ieee_inexact 0
		.amdhsa_exception_int_div_zero 0
	.end_amdhsa_kernel
	.text
.Lfunc_end0:
	.size	fft_rtc_back_len884_factors_13_4_17_wgs_204_tpt_68_halfLds_half_op_CI_CI_unitstride_sbrr_R2C_dirReg, .Lfunc_end0-fft_rtc_back_len884_factors_13_4_17_wgs_204_tpt_68_halfLds_half_op_CI_CI_unitstride_sbrr_R2C_dirReg
                                        ; -- End function
	.section	.AMDGPU.csdata,"",@progbits
; Kernel info:
; codeLenInByte = 13852
; NumSgprs: 32
; NumVgprs: 207
; ScratchSize: 0
; MemoryBound: 0
; FloatMode: 240
; IeeeMode: 1
; LDSByteSize: 0 bytes/workgroup (compile time only)
; SGPRBlocks: 3
; VGPRBlocks: 51
; NumSGPRsForWavesPerEU: 32
; NumVGPRsForWavesPerEU: 207
; Occupancy: 1
; WaveLimiterHint : 1
; COMPUTE_PGM_RSRC2:SCRATCH_EN: 0
; COMPUTE_PGM_RSRC2:USER_SGPR: 6
; COMPUTE_PGM_RSRC2:TRAP_HANDLER: 0
; COMPUTE_PGM_RSRC2:TGID_X_EN: 1
; COMPUTE_PGM_RSRC2:TGID_Y_EN: 0
; COMPUTE_PGM_RSRC2:TGID_Z_EN: 0
; COMPUTE_PGM_RSRC2:TIDIG_COMP_CNT: 0
	.type	__hip_cuid_12a651841180f00d,@object ; @__hip_cuid_12a651841180f00d
	.section	.bss,"aw",@nobits
	.globl	__hip_cuid_12a651841180f00d
__hip_cuid_12a651841180f00d:
	.byte	0                               ; 0x0
	.size	__hip_cuid_12a651841180f00d, 1

	.ident	"AMD clang version 19.0.0git (https://github.com/RadeonOpenCompute/llvm-project roc-6.4.0 25133 c7fe45cf4b819c5991fe208aaa96edf142730f1d)"
	.section	".note.GNU-stack","",@progbits
	.addrsig
	.addrsig_sym __hip_cuid_12a651841180f00d
	.amdgpu_metadata
---
amdhsa.kernels:
  - .args:
      - .actual_access:  read_only
        .address_space:  global
        .offset:         0
        .size:           8
        .value_kind:     global_buffer
      - .offset:         8
        .size:           8
        .value_kind:     by_value
      - .actual_access:  read_only
        .address_space:  global
        .offset:         16
        .size:           8
        .value_kind:     global_buffer
      - .actual_access:  read_only
        .address_space:  global
        .offset:         24
        .size:           8
        .value_kind:     global_buffer
      - .actual_access:  read_only
        .address_space:  global
        .offset:         32
        .size:           8
        .value_kind:     global_buffer
      - .offset:         40
        .size:           8
        .value_kind:     by_value
      - .actual_access:  read_only
        .address_space:  global
        .offset:         48
        .size:           8
        .value_kind:     global_buffer
      - .actual_access:  read_only
        .address_space:  global
        .offset:         56
        .size:           8
        .value_kind:     global_buffer
      - .offset:         64
        .size:           4
        .value_kind:     by_value
      - .actual_access:  read_only
        .address_space:  global
        .offset:         72
        .size:           8
        .value_kind:     global_buffer
      - .actual_access:  read_only
        .address_space:  global
        .offset:         80
        .size:           8
        .value_kind:     global_buffer
      - .actual_access:  read_only
        .address_space:  global
        .offset:         88
        .size:           8
        .value_kind:     global_buffer
      - .actual_access:  write_only
        .address_space:  global
        .offset:         96
        .size:           8
        .value_kind:     global_buffer
    .group_segment_fixed_size: 0
    .kernarg_segment_align: 8
    .kernarg_segment_size: 104
    .language:       OpenCL C
    .language_version:
      - 2
      - 0
    .max_flat_workgroup_size: 204
    .name:           fft_rtc_back_len884_factors_13_4_17_wgs_204_tpt_68_halfLds_half_op_CI_CI_unitstride_sbrr_R2C_dirReg
    .private_segment_fixed_size: 0
    .sgpr_count:     32
    .sgpr_spill_count: 0
    .symbol:         fft_rtc_back_len884_factors_13_4_17_wgs_204_tpt_68_halfLds_half_op_CI_CI_unitstride_sbrr_R2C_dirReg.kd
    .uniform_work_group_size: 1
    .uses_dynamic_stack: false
    .vgpr_count:     207
    .vgpr_spill_count: 0
    .wavefront_size: 64
amdhsa.target:   amdgcn-amd-amdhsa--gfx906
amdhsa.version:
  - 1
  - 2
...

	.end_amdgpu_metadata
